;; amdgpu-corpus repo=ROCm/rocFFT kind=compiled arch=gfx906 opt=O3
	.text
	.amdgcn_target "amdgcn-amd-amdhsa--gfx906"
	.amdhsa_code_object_version 6
	.protected	bluestein_single_back_len1372_dim1_sp_op_CI_CI ; -- Begin function bluestein_single_back_len1372_dim1_sp_op_CI_CI
	.globl	bluestein_single_back_len1372_dim1_sp_op_CI_CI
	.p2align	8
	.type	bluestein_single_back_len1372_dim1_sp_op_CI_CI,@function
bluestein_single_back_len1372_dim1_sp_op_CI_CI: ; @bluestein_single_back_len1372_dim1_sp_op_CI_CI
; %bb.0:
	s_load_dwordx4 s[16:19], s[4:5], 0x28
	v_mul_u32_u24_e32 v1, 0x29d, v0
	v_lshrrev_b32_e32 v1, 16, v1
	v_lshl_add_u32 v90, s6, 1, v1
	v_mov_b32_e32 v91, 0
	s_waitcnt lgkmcnt(0)
	v_cmp_gt_u64_e32 vcc, s[16:17], v[90:91]
	s_and_saveexec_b64 s[0:1], vcc
	s_cbranch_execz .LBB0_2
; %bb.1:
	s_load_dwordx4 s[0:3], s[4:5], 0x18
	s_load_dwordx4 s[8:11], s[4:5], 0x0
	v_mul_lo_u16_e32 v2, 0x62, v1
	v_sub_u16_e32 v105, v0, v2
	v_lshlrev_b32_e32 v33, 1, v105
	s_waitcnt lgkmcnt(0)
	s_load_dwordx4 s[12:15], s[0:1], 0x0
	v_add_u32_e32 v34, 0x498, v33
	v_and_b32_e32 v35, 1, v105
	s_load_dwordx2 s[4:5], s[4:5], 0x38
	s_waitcnt lgkmcnt(0)
	v_mad_u64_u32 v[2:3], s[0:1], s14, v90, 0
	v_mad_u64_u32 v[4:5], s[0:1], s12, v105, 0
	v_mov_b32_e32 v0, v3
	s_movk_i32 s14, 0x1000
	v_mov_b32_e32 v3, v5
	v_mad_u64_u32 v[5:6], s[0:1], s15, v90, v[0:1]
	v_mad_u64_u32 v[6:7], s[0:1], s13, v105, v[3:4]
	v_mov_b32_e32 v3, v5
	v_lshlrev_b64 v[2:3], 3, v[2:3]
	v_mov_b32_e32 v0, s19
	v_mov_b32_e32 v5, v6
	v_add_co_u32_e32 v6, vcc, s18, v2
	v_addc_co_u32_e32 v0, vcc, v0, v3, vcc
	v_lshlrev_b64 v[2:3], 3, v[4:5]
	s_mul_i32 s0, s13, 0x1570
	v_add_co_u32_e32 v2, vcc, v6, v2
	v_addc_co_u32_e32 v3, vcc, v0, v3, vcc
	v_lshlrev_b32_e32 v0, 3, v105
	v_mov_b32_e32 v6, s9
	v_add_co_u32_e32 v113, vcc, s8, v0
	s_mul_hi_u32 s1, s12, 0x1570
	v_addc_co_u32_e32 v114, vcc, 0, v6, vcc
	s_add_i32 s0, s1, s0
	s_mul_i32 s1, s12, 0x1570
	global_load_dwordx2 v[4:5], v[2:3], off
	v_mov_b32_e32 v6, s0
	v_add_co_u32_e32 v2, vcc, s1, v2
	v_addc_co_u32_e32 v3, vcc, v3, v6, vcc
	s_mul_hi_u32 s7, s12, 0xffffeda0
	v_add_co_u32_e32 v8, vcc, s14, v113
	s_mul_i32 s6, s13, 0xffffeda0
	s_sub_i32 s7, s7, s12
	v_addc_co_u32_e32 v9, vcc, 0, v114, vcc
	s_add_i32 s6, s7, s6
	s_mul_i32 s7, s12, 0xffffeda0
	global_load_dwordx2 v[6:7], v[2:3], off
	v_mov_b32_e32 v10, s6
	v_add_co_u32_e32 v2, vcc, s7, v2
	v_addc_co_u32_e32 v3, vcc, v3, v10, vcc
	v_mov_b32_e32 v11, s0
	v_add_co_u32_e32 v10, vcc, s1, v2
	v_addc_co_u32_e32 v11, vcc, v3, v11, vcc
	;; [unrolled: 3-line block ×3, first 2 shown]
	global_load_dwordx2 v[95:96], v0, s[8:9]
	global_load_dwordx2 v[14:15], v[2:3], off
	global_load_dwordx2 v[16:17], v[10:11], off
	global_load_dwordx2 v[18:19], v[12:13], off
	v_mov_b32_e32 v3, s0
	v_add_co_u32_e32 v2, vcc, s1, v12
	v_addc_co_u32_e32 v3, vcc, v13, v3, vcc
	global_load_dwordx2 v[10:11], v[2:3], off
	global_load_dwordx2 v[99:100], v[8:9], off offset:1392
	global_load_dwordx2 v[93:94], v[8:9], off offset:2176
	;; [unrolled: 1-line block ×3, first 2 shown]
	v_mov_b32_e32 v12, s6
	v_add_co_u32_e32 v2, vcc, s7, v2
	v_addc_co_u32_e32 v3, vcc, v3, v12, vcc
	global_load_dwordx2 v[12:13], v[2:3], off
	global_load_dwordx2 v[97:98], v0, s[8:9] offset:784
	global_load_dwordx2 v[91:92], v0, s[8:9] offset:1568
	;; [unrolled: 1-line block ×3, first 2 shown]
	v_mov_b32_e32 v20, s0
	v_add_co_u32_e32 v2, vcc, s1, v2
	v_addc_co_u32_e32 v3, vcc, v3, v20, vcc
	global_load_dwordx2 v[20:21], v[2:3], off
	global_load_dwordx2 v[84:85], v[8:9], off offset:3744
	v_mov_b32_e32 v22, s6
	v_add_co_u32_e32 v2, vcc, s7, v2
	v_addc_co_u32_e32 v3, vcc, v3, v22, vcc
	global_load_dwordx2 v[22:23], v[2:3], off
	global_load_dwordx2 v[82:83], v0, s[8:9] offset:3136
	v_mov_b32_e32 v24, s0
	v_add_co_u32_e32 v2, vcc, s1, v2
	v_addc_co_u32_e32 v3, vcc, v3, v24, vcc
	s_movk_i32 s12, 0x2000
	v_add_co_u32_e32 v103, vcc, s12, v113
	v_addc_co_u32_e32 v104, vcc, 0, v114, vcc
	global_load_dwordx2 v[24:25], v[2:3], off
	v_mov_b32_e32 v26, s6
	v_add_co_u32_e32 v2, vcc, s7, v2
	v_addc_co_u32_e32 v3, vcc, v3, v26, vcc
	global_load_dwordx2 v[80:81], v[103:104], off offset:432
	global_load_dwordx2 v[26:27], v[2:3], off
	global_load_dwordx2 v[78:79], v0, s[8:9] offset:3920
	v_mov_b32_e32 v28, s0
	v_add_co_u32_e32 v2, vcc, s1, v2
	v_addc_co_u32_e32 v3, vcc, v3, v28, vcc
	global_load_dwordx2 v[28:29], v[2:3], off
	global_load_dwordx2 v[76:77], v[103:104], off offset:1216
	v_mov_b32_e32 v30, s6
	v_add_co_u32_e32 v2, vcc, s7, v2
	v_addc_co_u32_e32 v3, vcc, v3, v30, vcc
	global_load_dwordx2 v[30:31], v[2:3], off
	global_load_dwordx2 v[74:75], v[8:9], off offset:608
	;; [unrolled: 5-line block ×3, first 2 shown]
	v_and_b32_e32 v1, 1, v1
	v_mov_b32_e32 v2, 0x2ae0
	v_cmp_eq_u32_e32 vcc, 1, v1
	v_cndmask_b32_e32 v48, 0, v2, vcc
	v_add_u32_e32 v111, v48, v0
	v_add_u32_e32 v110, 0x1800, v111
	;; [unrolled: 1-line block ×6, first 2 shown]
	s_load_dwordx4 s[0:3], s[2:3], 0x0
	v_add_u32_e32 v112, 0x1000, v111
	s_movk_i32 s6, 0x62
	v_lshl_add_u32 v130, v105, 4, v48
	v_lshl_add_u32 v124, v34, 3, v48
	s_mov_b32 s8, 0x3f5ff5aa
	s_movk_i32 s9, 0xc4
	s_waitcnt vmcnt(25)
	v_mul_f32_e32 v0, v4, v96
	v_mul_f32_e32 v1, v5, v96
	v_fma_f32 v2, v5, v95, -v0
	v_fmac_f32_e32 v1, v4, v95
	s_waitcnt vmcnt(20)
	v_mul_f32_e32 v3, v7, v100
	v_mul_f32_e32 v0, v6, v100
	v_fmac_f32_e32 v3, v6, v99
	v_fma_f32 v4, v7, v99, -v0
	ds_write_b64 v111, v[3:4] offset:5488
	s_waitcnt vmcnt(18)
	v_mul_f32_e32 v5, v11, v89
	s_waitcnt vmcnt(16)
	v_mul_f32_e32 v3, v15, v98
	v_mul_f32_e32 v4, v14, v98
	v_fmac_f32_e32 v3, v14, v97
	v_fma_f32 v4, v15, v97, -v4
	ds_write2_b64 v111, v[1:2], v[3:4] offset1:98
	v_mul_f32_e32 v1, v17, v94
	v_mul_f32_e32 v2, v16, v94
	;; [unrolled: 1-line block ×3, first 2 shown]
	v_fmac_f32_e32 v1, v16, v93
	v_fma_f32 v2, v17, v93, -v2
	v_fmac_f32_e32 v5, v10, v88
	v_fma_f32 v6, v11, v88, -v6
	s_waitcnt vmcnt(15)
	v_mul_f32_e32 v3, v19, v92
	v_mul_f32_e32 v4, v18, v92
	ds_write2_b64 v110, v[1:2], v[5:6] offset0:16 offset1:114
	s_waitcnt vmcnt(14)
	v_mul_f32_e32 v1, v13, v87
	v_mul_f32_e32 v2, v12, v87
	v_fmac_f32_e32 v3, v18, v91
	v_fma_f32 v4, v19, v91, -v4
	v_fmac_f32_e32 v1, v12, v86
	v_fma_f32 v2, v13, v86, -v2
	ds_write2_b64 v109, v[3:4], v[1:2] offset0:68 offset1:166
	s_waitcnt vmcnt(12)
	v_mul_f32_e32 v1, v21, v85
	v_mul_f32_e32 v2, v20, v85
	v_fmac_f32_e32 v1, v20, v84
	v_fma_f32 v2, v21, v84, -v2
	s_waitcnt vmcnt(10)
	v_mul_f32_e32 v3, v23, v83
	v_mul_f32_e32 v4, v22, v83
	v_fmac_f32_e32 v3, v22, v82
	v_fma_f32 v4, v23, v82, -v4
	v_add_co_u32_e32 v0, vcc, s6, v105
	s_waitcnt vmcnt(8)
	v_mul_f32_e32 v5, v25, v81
	v_mul_f32_e32 v6, v24, v81
	v_fmac_f32_e32 v5, v24, v80
	v_fma_f32 v6, v25, v80, -v6
	ds_write2_b64 v108, v[1:2], v[5:6] offset0:84 offset1:182
	s_waitcnt vmcnt(6)
	v_mul_f32_e32 v1, v27, v79
	v_mul_f32_e32 v2, v26, v79
	v_fmac_f32_e32 v1, v26, v78
	v_fma_f32 v2, v27, v78, -v2
	ds_write2_b64 v107, v[3:4], v[1:2] offset0:136 offset1:234
	s_waitcnt vmcnt(4)
	v_mul_f32_e32 v1, v29, v77
	v_mul_f32_e32 v2, v28, v77
	s_waitcnt vmcnt(2)
	v_mul_f32_e32 v3, v31, v75
	v_mul_f32_e32 v4, v30, v75
	v_fmac_f32_e32 v3, v30, v74
	v_fma_f32 v4, v31, v74, -v4
	ds_write_b64 v111, v[3:4] offset:4704
	v_fmac_f32_e32 v1, v28, v76
	s_waitcnt vmcnt(0)
	v_mul_f32_e32 v3, v9, v73
	v_mul_f32_e32 v4, v8, v73
	v_fma_f32 v2, v29, v76, -v2
	v_fmac_f32_e32 v3, v8, v72
	v_fma_f32 v4, v9, v72, -v4
	ds_write2_b64 v106, v[1:2], v[3:4] offset0:152 offset1:250
	s_waitcnt lgkmcnt(0)
	s_barrier
	ds_read2_b64 v[1:4], v111 offset1:98
	ds_read2_b64 v[5:8], v112 offset0:76 offset1:174
	ds_read2_b64 v[9:12], v110 offset0:16 offset1:114
	;; [unrolled: 1-line block ×6, first 2 shown]
	s_waitcnt lgkmcnt(0)
	s_barrier
	v_sub_f32_e32 v31, v1, v7
	v_sub_f32_e32 v32, v2, v8
	;; [unrolled: 1-line block ×4, first 2 shown]
	v_fma_f32 v29, v1, 2.0, -v31
	v_fma_f32 v30, v2, 2.0, -v32
	;; [unrolled: 1-line block ×4, first 2 shown]
	v_sub_f32_e32 v3, v13, v11
	v_sub_f32_e32 v4, v14, v12
	v_fma_f32 v1, v13, 2.0, -v3
	v_fma_f32 v2, v14, 2.0, -v4
	v_sub_f32_e32 v13, v15, v17
	v_sub_f32_e32 v14, v16, v18
	;; [unrolled: 1-line block ×4, first 2 shown]
	ds_write_b128 v130, v[29:32]
	v_add_u32_e32 v29, 0x188, v33
	v_fma_f32 v11, v15, 2.0, -v13
	v_fma_f32 v12, v16, 2.0, -v14
	;; [unrolled: 1-line block ×4, first 2 shown]
	v_sub_f32_e32 v21, v23, v25
	v_sub_f32_e32 v22, v24, v26
	;; [unrolled: 1-line block ×4, first 2 shown]
	v_lshl_add_u32 v129, v0, 4, v48
	v_lshl_add_u32 v128, v29, 3, v48
	v_add_u32_e32 v30, 0x24c, v33
	v_add_u32_e32 v31, 0x310, v33
	;; [unrolled: 1-line block ×3, first 2 shown]
	v_fma_f32 v19, v23, 2.0, -v21
	v_fma_f32 v20, v24, 2.0, -v22
	;; [unrolled: 1-line block ×4, first 2 shown]
	ds_write_b128 v129, v[7:10]
	ds_write_b128 v128, v[1:4]
	v_lshl_add_u32 v127, v30, 3, v48
	v_lshl_add_u32 v126, v31, 3, v48
	;; [unrolled: 1-line block ×3, first 2 shown]
	v_lshlrev_b32_e32 v1, 3, v35
	ds_write_b128 v127, v[11:14]
	ds_write_b128 v126, v[15:18]
	;; [unrolled: 1-line block ×4, first 2 shown]
	s_waitcnt lgkmcnt(0)
	s_barrier
	global_load_dwordx2 v[101:102], v1, s[10:11]
	ds_read2_b64 v[1:4], v111 offset1:98
	ds_read2_b64 v[5:8], v112 offset0:76 offset1:174
	ds_read2_b64 v[9:12], v110 offset0:16 offset1:114
	;; [unrolled: 1-line block ×6, first 2 shown]
	s_movk_i32 s6, 0xfc
	v_and_or_b32 v33, v33, s6, v35
	v_lshlrev_b32_e32 v36, 1, v0
	v_lshl_add_u32 v123, v33, 3, v48
	s_movk_i32 s6, 0x1fc
	s_waitcnt vmcnt(0) lgkmcnt(0)
	s_barrier
	v_mul_f32_e32 v37, v8, v102
	v_fma_f32 v37, v7, v101, -v37
	v_mul_f32_e32 v38, v7, v102
	v_mul_f32_e32 v7, v10, v102
	v_fma_f32 v39, v9, v101, -v7
	v_mul_f32_e32 v7, v12, v102
	v_fma_f32 v41, v11, v101, -v7
	;; [unrolled: 2-line block ×4, first 2 shown]
	v_mul_f32_e32 v7, v26, v102
	v_fmac_f32_e32 v38, v8, v101
	v_fma_f32 v47, v25, v101, -v7
	v_mul_f32_e32 v7, v28, v102
	v_fma_f32 v50, v27, v101, -v7
	v_sub_f32_e32 v7, v1, v37
	v_sub_f32_e32 v8, v2, v38
	v_fma_f32 v1, v1, 2.0, -v7
	v_fma_f32 v2, v2, 2.0, -v8
	ds_write2_b64 v123, v[1:2], v[7:8] offset1:2
	v_and_or_b32 v1, v36, s6, v35
	s_movk_i32 s6, 0x3fc
	v_lshl_add_u32 v122, v1, 3, v48
	v_and_or_b32 v1, v29, s6, v35
	v_lshl_add_u32 v121, v1, 3, v48
	v_and_or_b32 v1, v30, s6, v35
	s_movk_i32 s6, 0x7fc
	v_mul_f32_e32 v40, v9, v102
	v_lshl_add_u32 v120, v1, 3, v48
	v_and_or_b32 v1, v31, s6, v35
	v_fmac_f32_e32 v40, v10, v101
	v_lshl_add_u32 v119, v1, 3, v48
	v_and_or_b32 v1, v32, s6, v35
	s_movk_i32 s6, 0x5fc
	v_sub_f32_e32 v9, v3, v39
	v_sub_f32_e32 v10, v4, v40
	v_lshl_add_u32 v118, v1, 3, v48
	v_and_or_b32 v1, v34, s6, v35
	v_fma_f32 v3, v3, 2.0, -v9
	v_fma_f32 v4, v4, 2.0, -v10
	v_lshl_add_u32 v117, v1, 3, v48
	v_and_b32_e32 v1, 3, v105
	v_mul_f32_e32 v42, v11, v102
	v_mul_f32_e32 v44, v17, v102
	;; [unrolled: 1-line block ×5, first 2 shown]
	ds_write2_b64 v122, v[3:4], v[9:10] offset1:2
	v_mad_u64_u32 v[3:4], s[6:7], v1, 48, s[10:11]
	v_fmac_f32_e32 v42, v12, v101
	v_fmac_f32_e32 v44, v18, v101
	;; [unrolled: 1-line block ×5, first 2 shown]
	v_sub_f32_e32 v11, v13, v41
	v_sub_f32_e32 v12, v14, v42
	;; [unrolled: 1-line block ×10, first 2 shown]
	v_fma_f32 v13, v13, 2.0, -v11
	v_fma_f32 v14, v14, 2.0, -v12
	v_fma_f32 v15, v15, 2.0, -v17
	v_fma_f32 v16, v16, 2.0, -v18
	v_fma_f32 v21, v21, 2.0, -v19
	v_fma_f32 v22, v22, 2.0, -v20
	v_fma_f32 v23, v23, 2.0, -v25
	v_fma_f32 v24, v24, 2.0, -v26
	v_fma_f32 v5, v5, 2.0, -v27
	v_fma_f32 v6, v6, 2.0, -v28
	ds_write2_b64 v121, v[13:14], v[11:12] offset1:2
	ds_write2_b64 v120, v[15:16], v[17:18] offset1:2
	;; [unrolled: 1-line block ×5, first 2 shown]
	s_waitcnt lgkmcnt(0)
	s_barrier
	global_load_dwordx4 v[36:39], v[3:4], off offset:16
	global_load_dwordx4 v[8:11], v[3:4], off offset:32
	v_and_b32_e32 v2, 3, v0
	v_mad_u64_u32 v[5:6], s[6:7], v2, 48, s[10:11]
	global_load_dwordx4 v[40:43], v[5:6], off offset:16
	global_load_dwordx4 v[16:19], v[3:4], off offset:48
	;; [unrolled: 1-line block ×4, first 2 shown]
	ds_read2_b64 v[3:6], v111 offset1:98
	ds_read2_b64 v[20:23], v109 offset0:68 offset1:166
	ds_read2_b64 v[28:31], v107 offset0:136 offset1:234
	ds_read2_b64 v[32:35], v112 offset0:76 offset1:174
	ds_read2_b64 v[44:47], v110 offset0:16 offset1:114
	ds_read2_b64 v[49:52], v108 offset0:84 offset1:182
	ds_read2_b64 v[53:56], v106 offset0:152 offset1:250
	s_mov_b32 s7, 0x3f3bfb3b
	s_mov_b32 s6, 0xbf3bfb3b
	s_waitcnt vmcnt(0) lgkmcnt(0)
	s_barrier
	v_mul_f32_e32 v7, v21, v37
	v_fma_f32 v7, v20, v36, -v7
	v_mul_f32_e32 v20, v20, v37
	v_fmac_f32_e32 v20, v21, v36
	v_mul_f32_e32 v21, v29, v39
	v_fma_f32 v21, v28, v38, -v21
	v_mul_f32_e32 v28, v28, v39
	v_fmac_f32_e32 v28, v29, v38
	;; [unrolled: 4-line block ×4, first 2 shown]
	v_mul_f32_e32 v45, v23, v41
	v_fma_f32 v45, v22, v40, -v45
	v_mul_f32_e32 v57, v22, v41
	v_mul_f32_e32 v22, v50, v17
	v_fmac_f32_e32 v57, v23, v40
	v_fma_f32 v22, v49, v16, -v22
	v_mul_f32_e32 v23, v49, v17
	v_mul_f32_e32 v49, v31, v43
	v_fmac_f32_e32 v23, v50, v16
	;; [unrolled: 4-line block ×4, first 2 shown]
	v_fma_f32 v53, v34, v24, -v53
	v_mul_f32_e32 v54, v34, v25
	v_mul_f32_e32 v34, v47, v27
	v_fma_f32 v58, v46, v26, -v34
	v_mul_f32_e32 v46, v46, v27
	v_mul_f32_e32 v34, v52, v13
	v_fmac_f32_e32 v46, v47, v26
	v_fma_f32 v47, v51, v12, -v34
	v_mul_f32_e32 v51, v51, v13
	v_mul_f32_e32 v34, v56, v15
	v_fmac_f32_e32 v51, v52, v12
	v_fma_f32 v52, v55, v14, -v34
	v_add_f32_e32 v34, v7, v30
	v_sub_f32_e32 v7, v7, v30
	v_add_f32_e32 v30, v21, v22
	v_fmac_f32_e32 v54, v35, v24
	v_mul_f32_e32 v55, v55, v15
	v_add_f32_e32 v35, v20, v31
	v_sub_f32_e32 v20, v20, v31
	v_add_f32_e32 v31, v28, v23
	v_sub_f32_e32 v21, v21, v22
	v_sub_f32_e32 v22, v28, v23
	v_add_f32_e32 v23, v29, v33
	v_sub_f32_e32 v29, v33, v29
	v_add_f32_e32 v33, v30, v34
	v_fmac_f32_e32 v55, v56, v14
	v_add_f32_e32 v28, v32, v44
	v_sub_f32_e32 v32, v44, v32
	v_add_f32_e32 v44, v31, v35
	v_sub_f32_e32 v56, v30, v34
	v_sub_f32_e32 v34, v34, v23
	;; [unrolled: 1-line block ×3, first 2 shown]
	v_add_f32_e32 v23, v23, v33
	v_sub_f32_e32 v59, v31, v35
	v_sub_f32_e32 v35, v35, v28
	;; [unrolled: 1-line block ×3, first 2 shown]
	v_add_f32_e32 v61, v32, v22
	v_sub_f32_e32 v63, v32, v22
	v_add_f32_e32 v28, v28, v44
	v_add_f32_e32 v3, v3, v23
	;; [unrolled: 1-line block ×3, first 2 shown]
	v_sub_f32_e32 v62, v29, v21
	v_sub_f32_e32 v32, v20, v32
	;; [unrolled: 1-line block ×4, first 2 shown]
	v_add_f32_e32 v20, v61, v20
	v_add_f32_e32 v4, v4, v28
	v_mul_f32_e32 v61, 0xbf08b237, v63
	v_mov_b32_e32 v63, v3
	v_sub_f32_e32 v29, v7, v29
	v_add_f32_e32 v7, v60, v7
	v_mul_f32_e32 v33, 0x3f4a47b2, v34
	v_mul_f32_e32 v34, 0x3f4a47b2, v35
	;; [unrolled: 1-line block ×6, first 2 shown]
	v_fmac_f32_e32 v63, 0xbf955555, v23
	v_mov_b32_e32 v23, v4
	v_fmac_f32_e32 v23, 0xbf955555, v28
	v_mul_f32_e32 v64, 0xbf5ff5aa, v22
	v_fma_f32 v28, v56, s7, -v35
	v_fma_f32 v35, v59, s7, -v44
	;; [unrolled: 1-line block ×3, first 2 shown]
	v_fmac_f32_e32 v33, 0x3d64c772, v30
	v_fma_f32 v30, v59, s6, -v34
	v_fmac_f32_e32 v34, 0x3d64c772, v31
	v_fma_f32 v31, v21, s8, -v60
	;; [unrolled: 2-line block ×3, first 2 shown]
	v_fmac_f32_e32 v62, 0xbeae86e6, v29
	v_fmac_f32_e32 v61, 0x3eae86e6, v32
	;; [unrolled: 1-line block ×3, first 2 shown]
	v_add_f32_e32 v65, v34, v23
	v_add_f32_e32 v32, v28, v63
	;; [unrolled: 1-line block ×3, first 2 shown]
	v_fmac_f32_e32 v60, 0x3ee1c552, v7
	v_fmac_f32_e32 v31, 0x3ee1c552, v7
	;; [unrolled: 1-line block ×4, first 2 shown]
	v_add_f32_e32 v7, v45, v52
	v_add_f32_e32 v44, v57, v55
	v_sub_f32_e32 v45, v45, v52
	v_sub_f32_e32 v52, v57, v55
	v_add_f32_e32 v55, v49, v47
	v_add_f32_e32 v59, v33, v63
	;; [unrolled: 1-line block ×4, first 2 shown]
	v_sub_f32_e32 v28, v32, v56
	v_add_f32_e32 v30, v56, v32
	v_add_f32_e32 v56, v50, v51
	v_sub_f32_e32 v47, v49, v47
	v_sub_f32_e32 v49, v50, v51
	v_add_f32_e32 v50, v53, v58
	v_add_f32_e32 v51, v54, v46
	v_sub_f32_e32 v46, v46, v54
	v_add_f32_e32 v54, v55, v7
	v_fmac_f32_e32 v61, 0x3ee1c552, v20
	v_fmac_f32_e32 v64, 0x3ee1c552, v20
	v_sub_f32_e32 v53, v58, v53
	v_add_f32_e32 v57, v56, v44
	v_sub_f32_e32 v58, v55, v7
	v_sub_f32_e32 v7, v7, v50
	;; [unrolled: 1-line block ×3, first 2 shown]
	v_add_f32_e32 v50, v50, v54
	v_add_f32_e32 v20, v61, v59
	;; [unrolled: 1-line block ×3, first 2 shown]
	v_sub_f32_e32 v32, v34, v64
	v_sub_f32_e32 v34, v59, v61
	;; [unrolled: 1-line block ×5, first 2 shown]
	v_add_f32_e32 v51, v51, v57
	v_add_f32_e32 v5, v5, v50
	v_sub_f32_e32 v21, v65, v60
	v_sub_f32_e32 v23, v35, v62
	v_add_f32_e32 v29, v31, v33
	v_sub_f32_e32 v31, v33, v31
	v_add_f32_e32 v33, v62, v35
	v_add_f32_e32 v35, v60, v65
	;; [unrolled: 1-line block ×4, first 2 shown]
	v_sub_f32_e32 v62, v53, v47
	v_sub_f32_e32 v63, v46, v49
	;; [unrolled: 1-line block ×4, first 2 shown]
	v_add_f32_e32 v6, v6, v51
	v_mov_b32_e32 v64, v5
	v_sub_f32_e32 v53, v45, v53
	v_sub_f32_e32 v46, v52, v46
	v_add_f32_e32 v45, v60, v45
	v_add_f32_e32 v52, v61, v52
	v_mul_f32_e32 v7, 0x3f4a47b2, v7
	v_mul_f32_e32 v44, 0x3f4a47b2, v44
	;; [unrolled: 1-line block ×8, first 2 shown]
	v_fmac_f32_e32 v64, 0xbf955555, v50
	v_mov_b32_e32 v50, v6
	v_fmac_f32_e32 v50, 0xbf955555, v51
	v_fma_f32 v51, v58, s7, -v54
	v_fma_f32 v54, v59, s7, -v57
	;; [unrolled: 1-line block ×3, first 2 shown]
	v_fmac_f32_e32 v7, 0x3d64c772, v55
	v_fma_f32 v55, v59, s6, -v44
	v_fmac_f32_e32 v44, 0x3d64c772, v56
	v_fma_f32 v56, v47, s8, -v60
	v_fma_f32 v58, v49, s8, -v61
	v_fmac_f32_e32 v61, 0x3eae86e6, v46
	v_fmac_f32_e32 v62, 0xbeae86e6, v53
	v_fmac_f32_e32 v63, 0xbeae86e6, v46
	v_fmac_f32_e32 v60, 0x3eae86e6, v53
	v_add_f32_e32 v7, v7, v64
	v_add_f32_e32 v53, v54, v50
	;; [unrolled: 1-line block ×4, first 2 shown]
	v_fmac_f32_e32 v61, 0x3ee1c552, v52
	v_fmac_f32_e32 v56, 0x3ee1c552, v45
	v_fmac_f32_e32 v62, 0x3ee1c552, v45
	v_fmac_f32_e32 v63, 0x3ee1c552, v52
	v_add_f32_e32 v59, v44, v50
	v_fmac_f32_e32 v58, 0x3ee1c552, v52
	v_add_f32_e32 v44, v61, v7
	v_add_f32_e32 v46, v63, v54
	v_sub_f32_e32 v47, v55, v62
	v_add_f32_e32 v50, v56, v53
	v_sub_f32_e32 v52, v53, v56
	v_sub_f32_e32 v53, v54, v63
	v_add_f32_e32 v54, v62, v55
	v_sub_f32_e32 v55, v7, v61
	v_lshrrev_b32_e32 v7, 2, v105
	v_mul_u32_u24_e32 v7, 28, v7
	v_or_b32_e32 v1, v7, v1
	v_lshl_add_u32 v115, v1, 3, v48
	v_lshrrev_b32_e32 v1, 2, v0
	v_mul_u32_u24_e32 v1, 28, v1
	v_or_b32_e32 v1, v1, v2
	v_lshl_add_u32 v116, v1, 3, v48
	v_lshrrev_b16_e32 v1, 2, v105
	v_fmac_f32_e32 v60, 0x3ee1c552, v45
	v_and_b32_e32 v1, 63, v1
	v_sub_f32_e32 v45, v59, v60
	v_add_f32_e32 v56, v60, v59
	v_mul_lo_u16_e32 v59, 37, v1
	v_mov_b32_e32 v1, 28
	v_mul_lo_u16_sdwa v2, v59, v1 dst_sel:DWORD dst_unused:UNUSED_PAD src0_sel:BYTE_1 src1_sel:DWORD
	v_add_f32_e32 v51, v51, v64
	v_sub_u16_e32 v2, v105, v2
	v_sub_f32_e32 v49, v51, v58
	v_add_f32_e32 v51, v58, v51
	v_and_b32_e32 v60, 0xff, v2
	ds_write2_b64 v115, v[3:4], v[20:21] offset1:4
	ds_write2_b64 v115, v[22:23], v[28:29] offset0:8 offset1:12
	ds_write2_b64 v115, v[30:31], v[32:33] offset0:16 offset1:20
	ds_write_b64 v115, v[34:35] offset:192
	ds_write2_b64 v116, v[5:6], v[44:45] offset1:4
	ds_write2_b64 v116, v[46:47], v[49:50] offset0:8 offset1:12
	ds_write2_b64 v116, v[51:52], v[53:54] offset0:16 offset1:20
	ds_write_b64 v116, v[55:56] offset:192
	v_mad_u64_u32 v[51:52], s[12:13], v60, 48, s[10:11]
	v_lshrrev_b16_e32 v2, 2, v0
	v_and_b32_e32 v2, 63, v2
	v_mul_lo_u16_e32 v49, 37, v2
	v_mul_lo_u16_sdwa v1, v49, v1 dst_sel:DWORD dst_unused:UNUSED_PAD src0_sel:BYTE_1 src1_sel:DWORD
	s_waitcnt lgkmcnt(0)
	s_barrier
	global_load_dwordx4 v[32:35], v[51:52], off offset:208
	v_sub_u16_e32 v0, v0, v1
	v_and_b32_e32 v50, 0xff, v0
	v_mad_u64_u32 v[53:54], s[12:13], v50, 48, s[10:11]
	global_load_dwordx4 v[4:7], v[53:54], off offset:208
	global_load_dwordx4 v[28:31], v[51:52], off offset:224
	;; [unrolled: 1-line block ×5, first 2 shown]
	ds_read2_b64 v[51:54], v109 offset0:68 offset1:166
	ds_read2_b64 v[55:58], v107 offset0:136 offset1:234
	v_mul_u32_u24_sdwa v49, v49, s9 dst_sel:DWORD dst_unused:UNUSED_PAD src0_sel:BYTE_1 src1_sel:DWORD
	v_add_u32_e32 v49, v49, v50
	s_waitcnt vmcnt(5) lgkmcnt(1)
	v_mul_f32_e32 v61, v52, v33
	v_fma_f32 v61, v51, v32, -v61
	v_mul_f32_e32 v62, v51, v33
	s_waitcnt lgkmcnt(0)
	v_mul_f32_e32 v51, v56, v35
	v_fma_f32 v63, v55, v34, -v51
	s_waitcnt vmcnt(4)
	v_mul_f32_e32 v51, v54, v5
	v_mul_f32_e32 v66, v53, v5
	v_fmac_f32_e32 v62, v52, v32
	v_fma_f32 v65, v53, v4, -v51
	v_fmac_f32_e32 v66, v54, v4
	ds_read2_b64 v[51:54], v112 offset0:76 offset1:174
	v_mul_f32_e32 v64, v55, v35
	v_mul_f32_e32 v55, v58, v7
	v_fma_f32 v67, v57, v6, -v55
	v_mul_f32_e32 v68, v57, v7
	s_waitcnt vmcnt(3) lgkmcnt(0)
	v_mul_f32_e32 v55, v52, v29
	v_fmac_f32_e32 v64, v56, v34
	v_fmac_f32_e32 v68, v58, v6
	v_fma_f32 v69, v51, v28, -v55
	ds_read2_b64 v[55:58], v110 offset0:16 offset1:114
	v_mul_f32_e32 v70, v51, v29
	s_waitcnt vmcnt(2)
	v_mul_f32_e32 v51, v54, v1
	v_fma_f32 v71, v53, v0, -v51
	v_mul_f32_e32 v132, v53, v1
	s_waitcnt lgkmcnt(0)
	v_mul_f32_e32 v51, v56, v31
	v_fmac_f32_e32 v70, v52, v28
	v_fmac_f32_e32 v132, v54, v0
	v_fma_f32 v131, v55, v30, -v51
	ds_read2_b64 v[51:54], v108 offset0:84 offset1:182
	v_mul_f32_e32 v133, v55, v31
	v_mul_f32_e32 v55, v58, v3
	v_fma_f32 v134, v57, v2, -v55
	v_mul_f32_e32 v135, v57, v3
	s_waitcnt vmcnt(1) lgkmcnt(0)
	v_mul_f32_e32 v55, v52, v45
	v_fmac_f32_e32 v133, v56, v30
	v_fmac_f32_e32 v135, v58, v2
	v_fma_f32 v136, v51, v44, -v55
	ds_read2_b64 v[55:58], v106 offset0:152 offset1:250
	v_mul_f32_e32 v137, v51, v45
	s_waitcnt vmcnt(0)
	v_mul_f32_e32 v51, v54, v21
	v_fma_f32 v138, v53, v20, -v51
	v_mul_f32_e32 v139, v53, v21
	s_waitcnt lgkmcnt(0)
	v_mul_f32_e32 v51, v56, v47
	v_fma_f32 v140, v55, v46, -v51
	v_mul_f32_e32 v51, v58, v23
	v_mul_f32_e32 v55, v55, v47
	v_fma_f32 v141, v57, v22, -v51
	v_mul_f32_e32 v57, v57, v23
	v_fmac_f32_e32 v55, v56, v46
	v_fmac_f32_e32 v57, v58, v22
	v_add_f32_e32 v56, v61, v140
	v_add_f32_e32 v58, v63, v136
	;; [unrolled: 1-line block ×4, first 2 shown]
	v_fmac_f32_e32 v137, v52, v44
	v_fmac_f32_e32 v139, v54, v20
	v_add_f32_e32 v143, v142, v51
	ds_read2_b64 v[51:54], v111 offset1:98
	v_add_f32_e32 v144, v62, v55
	v_add_f32_e32 v145, v64, v137
	v_sub_f32_e32 v55, v62, v55
	v_sub_f32_e32 v62, v63, v136
	;; [unrolled: 1-line block ×4, first 2 shown]
	v_add_f32_e32 v146, v70, v133
	v_add_f32_e32 v147, v145, v144
	v_sub_f32_e32 v61, v61, v140
	v_sub_f32_e32 v69, v133, v70
	v_add_f32_e32 v137, v64, v62
	v_add_f32_e32 v147, v146, v147
	s_waitcnt lgkmcnt(0)
	v_add_f32_e32 v51, v51, v143
	v_sub_f32_e32 v140, v64, v62
	v_sub_f32_e32 v64, v61, v64
	;; [unrolled: 1-line block ×3, first 2 shown]
	v_add_f32_e32 v61, v137, v61
	v_add_f32_e32 v137, v69, v63
	;; [unrolled: 1-line block ×3, first 2 shown]
	v_sub_f32_e32 v70, v58, v56
	v_sub_f32_e32 v56, v56, v142
	;; [unrolled: 1-line block ×8, first 2 shown]
	v_add_f32_e32 v137, v137, v55
	v_mov_b32_e32 v144, v51
	v_mul_u32_u24_sdwa v55, v59, s9 dst_sel:DWORD dst_unused:UNUSED_PAD src0_sel:BYTE_1 src1_sel:DWORD
	v_sub_f32_e32 v136, v146, v145
	v_fmac_f32_e32 v144, 0xbf955555, v143
	v_mov_b32_e32 v143, v52
	v_add_u32_e32 v59, v55, v60
	v_mul_f32_e32 v55, 0x3f4a47b2, v56
	v_mul_f32_e32 v56, 0x3f4a47b2, v131
	;; [unrolled: 1-line block ×4, first 2 shown]
	v_fmac_f32_e32 v143, 0xbf955555, v147
	v_fma_f32 v142, v70, s6, -v55
	v_fmac_f32_e32 v55, 0x3d64c772, v58
	v_fma_f32 v145, v133, s6, -v56
	v_fmac_f32_e32 v56, 0x3d64c772, v136
	v_fma_f32 v146, v62, s8, -v60
	v_fmac_f32_e32 v60, 0x3eae86e6, v64
	v_fma_f32 v147, v63, s8, -v140
	v_fmac_f32_e32 v140, 0x3eae86e6, v69
	v_add_f32_e32 v156, v55, v144
	v_add_f32_e32 v157, v56, v143
	v_fmac_f32_e32 v60, 0x3ee1c552, v61
	v_fmac_f32_e32 v140, 0x3ee1c552, v137
	v_add_f32_e32 v55, v140, v156
	v_sub_f32_e32 v56, v157, v60
	v_lshl_add_u32 v131, v59, 3, v48
	s_barrier
	ds_write2_b64 v131, v[51:52], v[55:56] offset1:28
	v_mul_f32_e32 v51, 0x3d64c772, v58
	v_mul_f32_e32 v52, 0x3d64c772, v136
	v_mul_f32_e32 v58, 0xbf5ff5aa, v62
	v_mul_f32_e32 v59, 0xbf5ff5aa, v63
	v_fma_f32 v51, v70, s7, -v51
	v_fma_f32 v52, v133, s7, -v52
	v_fmac_f32_e32 v58, 0xbeae86e6, v64
	v_fmac_f32_e32 v59, 0xbeae86e6, v69
	v_add_f32_e32 v62, v51, v144
	v_add_f32_e32 v63, v142, v144
	;; [unrolled: 1-line block ×4, first 2 shown]
	v_fmac_f32_e32 v146, 0x3ee1c552, v61
	v_fmac_f32_e32 v58, 0x3ee1c552, v61
	;; [unrolled: 1-line block ×4, first 2 shown]
	v_add_f32_e32 v152, v66, v57
	v_add_f32_e32 v153, v68, v139
	v_add_f32_e32 v51, v59, v63
	v_sub_f32_e32 v52, v69, v58
	v_sub_f32_e32 v55, v62, v147
	v_add_f32_e32 v56, v146, v64
	v_add_f32_e32 v148, v65, v141
	;; [unrolled: 1-line block ×5, first 2 shown]
	ds_write2_b64 v131, v[51:52], v[55:56] offset0:56 offset1:84
	v_add_f32_e32 v51, v147, v62
	v_sub_f32_e32 v52, v64, v146
	v_sub_f32_e32 v55, v63, v59
	v_add_f32_e32 v56, v58, v69
	v_add_f32_e32 v150, v71, v134
	;; [unrolled: 1-line block ×4, first 2 shown]
	ds_write2_b64 v131, v[51:52], v[55:56] offset0:112 offset1:140
	v_sub_f32_e32 v55, v67, v138
	v_sub_f32_e32 v61, v134, v71
	v_add_f32_e32 v151, v150, v151
	v_add_f32_e32 v54, v54, v155
	;; [unrolled: 1-line block ×3, first 2 shown]
	v_sub_f32_e32 v59, v65, v141
	v_sub_f32_e32 v60, v66, v57
	;; [unrolled: 1-line block ×6, first 2 shown]
	v_add_f32_e32 v53, v53, v151
	v_mov_b32_e32 v64, v54
	v_sub_f32_e32 v66, v150, v149
	v_sub_f32_e32 v67, v153, v152
	v_add_f32_e32 v57, v61, v55
	v_sub_f32_e32 v69, v55, v59
	v_add_f32_e32 v55, v62, v56
	v_sub_f32_e32 v70, v62, v56
	v_sub_f32_e32 v71, v56, v60
	v_mul_f32_e32 v134, 0xbf08b237, v58
	v_mul_f32_e32 v56, 0x3d64c772, v68
	v_mov_b32_e32 v63, v53
	v_fmac_f32_e32 v64, 0xbf955555, v155
	v_sub_f32_e32 v65, v149, v148
	v_add_f32_e32 v132, v57, v59
	v_add_f32_e32 v133, v55, v60
	v_mul_f32_e32 v70, 0xbf08b237, v70
	v_mul_f32_e32 v55, 0x3d64c772, v66
	v_fma_f32 v56, v67, s7, -v56
	v_fma_f32 v135, v69, s8, -v134
	v_fmac_f32_e32 v63, 0xbf955555, v151
	v_fma_f32 v55, v65, s7, -v55
	v_add_f32_e32 v58, v56, v64
	v_fmac_f32_e32 v135, 0x3ee1c552, v132
	v_fma_f32 v136, v71, s8, -v70
	v_add_f32_e32 v57, v55, v63
	v_fmac_f32_e32 v136, 0x3ee1c552, v133
	v_add_f32_e32 v56, v135, v58
	v_sub_f32_e32 v58, v58, v135
	v_sub_f32_e32 v135, v148, v150
	;; [unrolled: 1-line block ×3, first 2 shown]
	v_add_f32_e32 v57, v136, v57
	v_sub_f32_e32 v136, v152, v154
	v_sub_f32_e32 v137, v59, v61
	;; [unrolled: 1-line block ×3, first 2 shown]
	v_mul_f32_e32 v135, 0x3f4a47b2, v135
	v_mul_f32_e32 v61, 0xbf5ff5aa, v71
	;; [unrolled: 1-line block ×4, first 2 shown]
	v_fma_f32 v59, v65, s6, -v135
	v_fmac_f32_e32 v61, 0xbeae86e6, v138
	v_fma_f32 v60, v67, s6, -v136
	v_fmac_f32_e32 v62, 0xbeae86e6, v137
	v_add_f32_e32 v65, v59, v63
	v_fmac_f32_e32 v61, 0x3ee1c552, v133
	v_fmac_f32_e32 v135, 0x3d64c772, v66
	;; [unrolled: 1-line block ×5, first 2 shown]
	v_add_f32_e32 v67, v60, v64
	v_fmac_f32_e32 v62, 0x3ee1c552, v132
	v_add_f32_e32 v59, v61, v65
	v_sub_f32_e32 v61, v65, v61
	v_add_f32_e32 v65, v135, v63
	v_add_f32_e32 v66, v136, v64
	v_fmac_f32_e32 v134, 0x3ee1c552, v132
	v_fmac_f32_e32 v70, 0x3ee1c552, v133
	v_sub_f32_e32 v51, v156, v140
	v_sub_f32_e32 v60, v67, v62
	v_add_f32_e32 v63, v70, v65
	v_sub_f32_e32 v64, v66, v134
	v_lshl_add_u32 v132, v49, 3, v48
	v_add_f32_e32 v62, v62, v67
	v_sub_f32_e32 v65, v65, v70
	v_add_f32_e32 v66, v134, v66
	ds_write_b64 v131, v[51:52] offset:1344
	ds_write2_b64 v132, v[53:54], v[63:64] offset1:28
	ds_write2_b64 v132, v[59:60], v[55:56] offset0:56 offset1:84
	ds_write2_b64 v132, v[57:58], v[61:62] offset0:112 offset1:140
	ds_write_b64 v132, v[65:66] offset:1344
	v_mad_u64_u32 v[60:61], s[10:11], v105, 48, s[10:11]
	s_waitcnt lgkmcnt(0)
	s_barrier
	global_load_dwordx4 v[48:51], v[60:61], off offset:1552
	v_add_co_u32_e32 v52, vcc, s14, v60
	v_addc_co_u32_e32 v53, vcc, 0, v61, vcc
	global_load_dwordx4 v[52:55], v[52:53], off offset:2160
	s_movk_i32 s9, 0x1870
	global_load_dwordx4 v[64:67], v[60:61], off offset:1568
	v_add_co_u32_e32 v62, vcc, s9, v60
	v_addc_co_u32_e32 v63, vcc, 0, v61, vcc
	global_load_dwordx4 v[56:59], v[62:63], off offset:16
	global_load_dwordx4 v[68:71], v[60:61], off offset:1584
	s_nop 0
	global_load_dwordx4 v[60:63], v[62:63], off offset:32
	ds_read2_b64 v[133:136], v109 offset0:68 offset1:166
	s_waitcnt vmcnt(5) lgkmcnt(0)
	v_mul_f32_e32 v137, v134, v49
	v_fma_f32 v141, v133, v48, -v137
	ds_read2_b64 v[137:140], v107 offset0:136 offset1:234
	v_mul_f32_e32 v142, v133, v49
	v_fmac_f32_e32 v142, v134, v48
	s_waitcnt vmcnt(4)
	v_mul_f32_e32 v133, v136, v53
	v_fma_f32 v149, v135, v52, -v133
	v_mul_f32_e32 v150, v135, v53
	s_waitcnt lgkmcnt(0)
	v_mul_f32_e32 v133, v138, v51
	v_fmac_f32_e32 v150, v136, v52
	v_fma_f32 v143, v137, v50, -v133
	ds_read2_b64 v[133:136], v112 offset0:76 offset1:174
	v_mul_f32_e32 v144, v137, v51
	v_mul_f32_e32 v137, v140, v55
	v_fma_f32 v151, v139, v54, -v137
	v_mul_f32_e32 v152, v139, v55
	s_waitcnt vmcnt(3) lgkmcnt(0)
	v_mul_f32_e32 v137, v134, v65
	v_fmac_f32_e32 v144, v138, v50
	v_fmac_f32_e32 v152, v140, v54
	v_fma_f32 v145, v133, v64, -v137
	ds_read2_b64 v[137:140], v110 offset0:16 offset1:114
	v_mul_f32_e32 v146, v133, v65
	s_waitcnt vmcnt(2)
	v_mul_f32_e32 v133, v136, v57
	v_fma_f32 v153, v135, v56, -v133
	v_mul_f32_e32 v154, v135, v57
	s_waitcnt lgkmcnt(0)
	v_mul_f32_e32 v133, v138, v67
	v_fmac_f32_e32 v146, v134, v64
	v_fmac_f32_e32 v154, v136, v56
	v_fma_f32 v147, v137, v66, -v133
	ds_read2_b64 v[133:136], v108 offset0:84 offset1:182
	v_mul_f32_e32 v148, v137, v67
	v_mul_f32_e32 v137, v140, v59
	v_fma_f32 v155, v139, v58, -v137
	v_mul_f32_e32 v156, v139, v59
	s_waitcnt vmcnt(1) lgkmcnt(0)
	v_mul_f32_e32 v137, v134, v69
	v_fmac_f32_e32 v148, v138, v66
	v_fmac_f32_e32 v156, v140, v58
	v_fma_f32 v157, v133, v68, -v137
	ds_read2_b64 v[137:140], v106 offset0:152 offset1:250
	v_mul_f32_e32 v158, v133, v69
	s_waitcnt vmcnt(0)
	v_mul_f32_e32 v133, v136, v61
	v_fma_f32 v159, v135, v60, -v133
	v_mul_f32_e32 v160, v135, v61
	s_waitcnt lgkmcnt(0)
	v_mul_f32_e32 v133, v138, v71
	v_fma_f32 v161, v137, v70, -v133
	v_mul_f32_e32 v137, v137, v71
	v_fmac_f32_e32 v137, v138, v70
	v_mul_f32_e32 v133, v140, v63
	v_add_f32_e32 v164, v141, v161
	v_add_f32_e32 v138, v143, v157
	v_fma_f32 v162, v139, v62, -v133
	v_add_f32_e32 v165, v145, v147
	v_add_f32_e32 v133, v138, v164
	v_fmac_f32_e32 v158, v134, v68
	v_fmac_f32_e32 v160, v136, v60
	v_mul_f32_e32 v163, v139, v63
	v_add_f32_e32 v139, v165, v133
	ds_read2_b64 v[133:136], v111 offset1:98
	v_fmac_f32_e32 v163, v140, v62
	v_add_f32_e32 v166, v142, v137
	v_add_f32_e32 v140, v144, v158
	;; [unrolled: 1-line block ×5, first 2 shown]
	s_waitcnt lgkmcnt(0)
	v_add_f32_e32 v133, v133, v139
	v_add_f32_e32 v134, v134, v168
	v_sub_f32_e32 v142, v142, v137
	v_sub_f32_e32 v137, v143, v157
	;; [unrolled: 1-line block ×6, first 2 shown]
	v_mov_b32_e32 v146, v133
	v_mov_b32_e32 v147, v134
	v_sub_f32_e32 v158, v140, v166
	v_sub_f32_e32 v161, v167, v140
	;; [unrolled: 1-line block ×3, first 2 shown]
	v_fmac_f32_e32 v146, 0xbf955555, v139
	v_fmac_f32_e32 v147, 0xbf955555, v168
	v_sub_f32_e32 v148, v138, v164
	v_sub_f32_e32 v157, v165, v138
	v_add_f32_e32 v138, v144, v137
	v_sub_f32_e32 v139, v144, v137
	v_sub_f32_e32 v168, v137, v141
	v_add_f32_e32 v137, v145, v143
	v_sub_f32_e32 v143, v143, v142
	v_mul_f32_e32 v180, 0xbf08b237, v140
	v_sub_f32_e32 v164, v164, v165
	v_fma_f32 v182, v143, s8, -v180
	v_sub_f32_e32 v165, v166, v167
	v_sub_f32_e32 v145, v142, v145
	v_mul_f32_e32 v164, 0x3f4a47b2, v164
	v_mul_f32_e32 v143, 0xbf5ff5aa, v143
	v_add_f32_e32 v177, v138, v141
	v_add_f32_e32 v178, v137, v142
	v_mul_f32_e32 v179, 0xbf08b237, v139
	v_mul_f32_e32 v137, 0x3d64c772, v157
	v_sub_f32_e32 v166, v141, v144
	v_mul_f32_e32 v165, 0x3f4a47b2, v165
	v_fma_f32 v141, v148, s6, -v164
	v_fmac_f32_e32 v143, 0xbeae86e6, v145
	v_add_f32_e32 v169, v149, v162
	v_add_f32_e32 v170, v151, v159
	;; [unrolled: 1-line block ×4, first 2 shown]
	v_fma_f32 v137, v148, s7, -v137
	v_mul_f32_e32 v138, 0x3d64c772, v161
	v_fma_f32 v181, v168, s8, -v179
	v_mul_f32_e32 v144, 0xbf5ff5aa, v168
	v_fma_f32 v142, v158, s6, -v165
	v_add_f32_e32 v148, v141, v146
	v_fmac_f32_e32 v143, 0x3ee1c552, v178
	v_fmac_f32_e32 v164, 0x3d64c772, v157
	v_fmac_f32_e32 v165, 0x3d64c772, v161
	v_fmac_f32_e32 v179, 0x3eae86e6, v166
	v_fmac_f32_e32 v180, 0x3eae86e6, v145
	v_add_f32_e32 v171, v153, v155
	v_add_f32_e32 v172, v170, v169
	;; [unrolled: 1-line block ×4, first 2 shown]
	v_fma_f32 v138, v158, s7, -v138
	v_add_f32_e32 v139, v137, v146
	v_fmac_f32_e32 v182, 0x3ee1c552, v178
	v_fmac_f32_e32 v144, 0xbeae86e6, v166
	v_add_f32_e32 v141, v143, v148
	v_sub_f32_e32 v143, v148, v143
	v_add_f32_e32 v148, v164, v146
	v_add_f32_e32 v157, v165, v147
	v_fmac_f32_e32 v179, 0x3ee1c552, v177
	v_fmac_f32_e32 v180, 0x3ee1c552, v178
	v_add_f32_e32 v172, v171, v172
	v_add_f32_e32 v176, v175, v176
	;; [unrolled: 1-line block ×3, first 2 shown]
	v_fmac_f32_e32 v181, 0x3ee1c552, v177
	v_sub_f32_e32 v137, v139, v182
	v_add_f32_e32 v139, v182, v139
	v_add_f32_e32 v158, v142, v147
	v_fmac_f32_e32 v144, 0x3ee1c552, v177
	v_add_f32_e32 v145, v180, v148
	v_sub_f32_e32 v146, v157, v179
	v_add_f32_e32 v135, v135, v172
	v_add_f32_e32 v136, v136, v176
	;; [unrolled: 1-line block ×3, first 2 shown]
	v_sub_f32_e32 v140, v140, v181
	v_sub_f32_e32 v142, v158, v144
	v_add_f32_e32 v144, v144, v158
	v_sub_f32_e32 v147, v148, v180
	v_add_f32_e32 v148, v179, v157
	ds_write_b64 v111, v[145:146] offset:1568
	ds_write_b64 v111, v[141:142] offset:3136
	;; [unrolled: 1-line block ×6, first 2 shown]
	ds_write2_b64 v111, v[133:134], v[135:136] offset1:98
	v_sub_f32_e32 v133, v151, v159
	v_sub_f32_e32 v139, v155, v153
	;; [unrolled: 1-line block ×6, first 2 shown]
	v_mov_b32_e32 v142, v136
	v_sub_f32_e32 v146, v175, v174
	v_sub_f32_e32 v136, v139, v133
	v_mov_b32_e32 v141, v135
	v_sub_f32_e32 v144, v171, v170
	v_sub_f32_e32 v145, v174, v173
	v_add_f32_e32 v135, v139, v133
	v_sub_f32_e32 v147, v133, v137
	v_add_f32_e32 v133, v140, v134
	v_sub_f32_e32 v148, v140, v134
	v_sub_f32_e32 v149, v134, v138
	v_mul_f32_e32 v152, 0xbf08b237, v136
	v_mul_f32_e32 v134, 0x3d64c772, v146
	v_fmac_f32_e32 v142, 0xbf955555, v176
	v_sub_f32_e32 v143, v170, v169
	v_add_f32_e32 v150, v135, v137
	v_add_f32_e32 v151, v133, v138
	v_mul_f32_e32 v148, 0xbf08b237, v148
	v_mul_f32_e32 v133, 0x3d64c772, v144
	v_fma_f32 v134, v145, s7, -v134
	v_fma_f32 v153, v147, s8, -v152
	v_fmac_f32_e32 v141, 0xbf955555, v172
	v_fma_f32 v133, v143, s7, -v133
	v_add_f32_e32 v136, v134, v142
	v_fmac_f32_e32 v153, 0x3ee1c552, v150
	v_fma_f32 v154, v149, s8, -v148
	v_add_f32_e32 v135, v133, v141
	v_fmac_f32_e32 v154, 0x3ee1c552, v151
	v_add_f32_e32 v134, v153, v136
	v_sub_f32_e32 v136, v136, v153
	v_sub_f32_e32 v153, v169, v171
	;; [unrolled: 1-line block ×3, first 2 shown]
	v_add_f32_e32 v135, v154, v135
	v_sub_f32_e32 v154, v173, v175
	v_sub_f32_e32 v155, v137, v139
	;; [unrolled: 1-line block ×3, first 2 shown]
	v_mul_f32_e32 v153, 0x3f4a47b2, v153
	v_mul_f32_e32 v139, 0xbf5ff5aa, v149
	;; [unrolled: 1-line block ×3, first 2 shown]
	v_fma_f32 v137, v143, s6, -v153
	v_fmac_f32_e32 v139, 0xbeae86e6, v156
	v_mul_f32_e32 v140, 0xbf5ff5aa, v147
	v_fma_f32 v138, v145, s6, -v154
	v_add_f32_e32 v143, v137, v141
	v_fmac_f32_e32 v139, 0x3ee1c552, v151
	v_fmac_f32_e32 v153, 0x3d64c772, v144
	;; [unrolled: 1-line block ×6, first 2 shown]
	v_add_f32_e32 v137, v139, v143
	v_sub_f32_e32 v139, v143, v139
	v_add_f32_e32 v143, v153, v141
	v_add_f32_e32 v144, v154, v142
	v_fmac_f32_e32 v152, 0x3ee1c552, v150
	v_fmac_f32_e32 v148, 0x3ee1c552, v151
	v_add_f32_e32 v145, v138, v142
	v_fmac_f32_e32 v140, 0x3ee1c552, v150
	v_add_f32_e32 v141, v148, v143
	v_sub_f32_e32 v142, v144, v152
	v_sub_f32_e32 v138, v145, v140
	v_add_f32_e32 v140, v140, v145
	v_sub_f32_e32 v143, v143, v148
	v_add_f32_e32 v144, v152, v144
	ds_write_b64 v111, v[141:142] offset:2352
	ds_write_b64 v111, v[137:138] offset:3920
	;; [unrolled: 1-line block ×6, first 2 shown]
	s_waitcnt lgkmcnt(0)
	s_barrier
	global_load_dwordx2 v[103:104], v[103:104], off offset:2784
	s_movk_i32 s8, 0x2ae0
	v_add_co_u32_e32 v133, vcc, s8, v113
	v_addc_co_u32_e32 v134, vcc, 0, v114, vcc
	global_load_dwordx2 v[141:142], v[133:134], off offset:784
	s_movk_i32 s8, 0x4000
	v_add_co_u32_e32 v135, vcc, s8, v113
	v_addc_co_u32_e32 v136, vcc, 0, v114, vcc
	global_load_dwordx2 v[143:144], v[135:136], off offset:864
	global_load_dwordx2 v[145:146], v[135:136], off offset:1648
	;; [unrolled: 1-line block ×9, first 2 shown]
	s_movk_i32 s8, 0x3000
	v_add_co_u32_e32 v133, vcc, s8, v113
	v_addc_co_u32_e32 v134, vcc, 0, v114, vcc
	s_movk_i32 s8, 0x5000
	v_add_co_u32_e32 v113, vcc, s8, v113
	global_load_dwordx2 v[161:162], v[133:134], off offset:3392
	global_load_dwordx2 v[163:164], v[135:136], off offset:4000
	v_addc_co_u32_e32 v114, vcc, 0, v114, vcc
	global_load_dwordx2 v[113:114], v[113:114], off offset:688
	ds_read2_b64 v[133:136], v111 offset1:98
	s_mov_b32 s8, 0xbf5ff5aa
	s_waitcnt vmcnt(13) lgkmcnt(0)
	v_mul_f32_e32 v137, v134, v104
	v_fma_f32 v165, v133, v103, -v137
	ds_read2_b64 v[137:140], v110 offset0:16 offset1:114
	v_mul_f32_e32 v166, v133, v104
	v_fmac_f32_e32 v166, v134, v103
	s_waitcnt vmcnt(12)
	v_mul_f32_e32 v103, v136, v142
	v_mul_f32_e32 v104, v135, v142
	s_waitcnt vmcnt(11) lgkmcnt(0)
	v_mul_f32_e32 v133, v138, v144
	v_fma_f32 v103, v135, v141, -v103
	v_fmac_f32_e32 v104, v136, v141
	v_fma_f32 v141, v137, v143, -v133
	ds_read2_b64 v[133:136], v109 offset0:68 offset1:166
	v_mul_f32_e32 v142, v137, v144
	s_waitcnt vmcnt(10)
	v_mul_f32_e32 v137, v140, v146
	v_fmac_f32_e32 v142, v138, v143
	v_fma_f32 v143, v139, v145, -v137
	v_mul_f32_e32 v144, v139, v146
	s_waitcnt vmcnt(9) lgkmcnt(0)
	v_mul_f32_e32 v137, v134, v148
	v_fmac_f32_e32 v144, v140, v145
	v_fma_f32 v145, v133, v147, -v137
	ds_read2_b64 v[137:140], v108 offset0:84 offset1:182
	v_mul_f32_e32 v146, v133, v148
	s_waitcnt vmcnt(8)
	v_mul_f32_e32 v133, v136, v150
	v_fmac_f32_e32 v146, v134, v147
	v_fma_f32 v147, v135, v149, -v133
	v_mul_f32_e32 v148, v135, v150
	s_waitcnt vmcnt(7) lgkmcnt(0)
	v_mul_f32_e32 v133, v138, v152
	;; [unrolled: 11-line block ×4, first 2 shown]
	v_fmac_f32_e32 v156, v136, v157
	v_fma_f32 v157, v139, v159, -v133
	ds_read2_b64 v[133:136], v106 offset0:152 offset1:250
	v_mul_f32_e32 v158, v139, v160
	v_fmac_f32_e32 v158, v140, v159
	s_waitcnt vmcnt(2)
	v_mul_f32_e32 v139, v138, v162
	v_mul_f32_e32 v140, v137, v162
	v_fma_f32 v139, v137, v161, -v139
	v_fmac_f32_e32 v140, v138, v161
	s_waitcnt vmcnt(1) lgkmcnt(0)
	v_mul_f32_e32 v137, v134, v164
	v_mul_f32_e32 v138, v133, v164
	v_fma_f32 v137, v133, v163, -v137
	v_fmac_f32_e32 v138, v134, v163
	s_waitcnt vmcnt(0)
	v_mul_f32_e32 v133, v136, v114
	v_mul_f32_e32 v134, v135, v114
	v_fma_f32 v133, v135, v113, -v133
	v_fmac_f32_e32 v134, v136, v113
	ds_write2_b64 v111, v[165:166], v[103:104] offset1:98
	ds_write2_b64 v110, v[141:142], v[143:144] offset0:16 offset1:114
	ds_write2_b64 v109, v[145:146], v[147:148] offset0:68 offset1:166
	;; [unrolled: 1-line block ×6, first 2 shown]
	s_waitcnt lgkmcnt(0)
	s_barrier
	ds_read2_b64 v[133:136], v111 offset1:98
	ds_read2_b64 v[137:140], v112 offset0:76 offset1:174
	ds_read2_b64 v[143:146], v110 offset0:16 offset1:114
	;; [unrolled: 1-line block ×6, first 2 shown]
	s_waitcnt lgkmcnt(0)
	s_barrier
	v_sub_f32_e32 v141, v133, v139
	v_sub_f32_e32 v142, v134, v140
	v_fma_f32 v139, v133, 2.0, -v141
	v_fma_f32 v140, v134, 2.0, -v142
	ds_write_b128 v130, v[139:142]
	v_sub_f32_e32 v141, v135, v143
	v_sub_f32_e32 v142, v136, v144
	v_fma_f32 v139, v135, 2.0, -v141
	v_fma_f32 v140, v136, 2.0, -v142
	v_sub_f32_e32 v135, v147, v145
	v_sub_f32_e32 v136, v148, v146
	v_fma_f32 v133, v147, 2.0, -v135
	v_fma_f32 v134, v148, 2.0, -v136
	ds_write_b128 v129, v[139:142]
	ds_write_b128 v128, v[133:136]
	v_sub_f32_e32 v135, v149, v151
	v_sub_f32_e32 v136, v150, v152
	v_fma_f32 v133, v149, 2.0, -v135
	v_fma_f32 v134, v150, 2.0, -v136
	v_sub_f32_e32 v129, v155, v153
	v_sub_f32_e32 v130, v156, v154
	ds_write_b128 v127, v[133:136]
	v_fma_f32 v127, v155, 2.0, -v129
	v_fma_f32 v128, v156, 2.0, -v130
	ds_write_b128 v126, v[127:130]
	v_sub_f32_e32 v128, v157, v159
	v_sub_f32_e32 v129, v158, v160
	v_fma_f32 v126, v157, 2.0, -v128
	v_fma_f32 v127, v158, 2.0, -v129
	ds_write_b128 v125, v[126:129]
	v_sub_f32_e32 v127, v137, v161
	v_sub_f32_e32 v128, v138, v162
	v_fma_f32 v125, v137, 2.0, -v127
	v_fma_f32 v126, v138, 2.0, -v128
	ds_write_b128 v124, v[125:128]
	s_waitcnt lgkmcnt(0)
	s_barrier
	ds_read2_b64 v[124:127], v110 offset0:16 offset1:114
	ds_read2_b64 v[133:136], v108 offset0:84 offset1:182
	s_waitcnt lgkmcnt(1)
	v_mul_f32_e32 v103, v102, v124
	v_mul_f32_e32 v128, v102, v125
	v_fma_f32 v129, v101, v125, -v103
	v_mul_f32_e32 v130, v102, v127
	v_mul_f32_e32 v103, v102, v126
	v_fmac_f32_e32 v128, v101, v124
	v_fmac_f32_e32 v130, v101, v126
	v_fma_f32 v139, v101, v127, -v103
	ds_read2_b64 v[124:127], v106 offset0:152 offset1:250
	s_waitcnt lgkmcnt(1)
	v_mul_f32_e32 v103, v102, v133
	v_mul_f32_e32 v140, v102, v134
	v_fma_f32 v141, v101, v134, -v103
	v_mul_f32_e32 v142, v102, v136
	v_mul_f32_e32 v103, v102, v135
	v_fmac_f32_e32 v140, v101, v133
	v_fmac_f32_e32 v142, v101, v135
	v_fma_f32 v143, v101, v136, -v103
	s_waitcnt lgkmcnt(0)
	v_mul_f32_e32 v103, v102, v124
	ds_read2_b64 v[133:136], v112 offset0:76 offset1:174
	v_mul_f32_e32 v144, v102, v125
	v_fma_f32 v145, v101, v125, -v103
	v_mul_f32_e32 v146, v102, v127
	v_mul_f32_e32 v103, v102, v126
	v_fmac_f32_e32 v144, v101, v124
	v_fmac_f32_e32 v146, v101, v126
	v_fma_f32 v147, v101, v127, -v103
	ds_read2_b64 v[124:127], v111 offset1:98
	s_waitcnt lgkmcnt(1)
	v_mul_f32_e32 v103, v102, v136
	v_mul_f32_e32 v102, v102, v135
	v_fmac_f32_e32 v103, v101, v135
	v_fma_f32 v101, v101, v136, -v102
	s_waitcnt lgkmcnt(0)
	v_sub_f32_e32 v113, v124, v103
	v_sub_f32_e32 v114, v125, v101
	ds_read2_b64 v[101:104], v109 offset0:68 offset1:166
	ds_read2_b64 v[135:138], v107 offset0:136 offset1:234
	v_fma_f32 v124, v124, 2.0, -v113
	v_fma_f32 v125, v125, 2.0, -v114
	s_waitcnt lgkmcnt(0)
	s_barrier
	ds_write2_b64 v123, v[124:125], v[113:114] offset1:2
	v_sub_f32_e32 v113, v126, v128
	v_sub_f32_e32 v114, v127, v129
	v_fma_f32 v123, v126, 2.0, -v113
	v_fma_f32 v124, v127, 2.0, -v114
	ds_write2_b64 v122, v[123:124], v[113:114] offset1:2
	v_sub_f32_e32 v113, v101, v130
	v_sub_f32_e32 v114, v102, v139
	v_fma_f32 v101, v101, 2.0, -v113
	v_fma_f32 v102, v102, 2.0, -v114
	;; [unrolled: 5-line block ×4, first 2 shown]
	ds_write2_b64 v119, v[103:104], v[101:102] offset1:2
	v_sub_f32_e32 v101, v137, v144
	v_sub_f32_e32 v102, v138, v145
	;; [unrolled: 1-line block ×4, first 2 shown]
	v_fma_f32 v103, v137, 2.0, -v101
	v_fma_f32 v104, v138, 2.0, -v102
	;; [unrolled: 1-line block ×4, first 2 shown]
	ds_write2_b64 v118, v[103:104], v[101:102] offset1:2
	ds_write2_b64 v117, v[119:120], v[113:114] offset1:2
	s_waitcnt lgkmcnt(0)
	s_barrier
	ds_read2_b64 v[101:104], v109 offset0:68 offset1:166
	ds_read2_b64 v[117:120], v107 offset0:136 offset1:234
	s_waitcnt lgkmcnt(1)
	v_mul_f32_e32 v113, v37, v102
	v_mul_f32_e32 v37, v37, v101
	v_fmac_f32_e32 v113, v36, v101
	v_fma_f32 v101, v36, v102, -v37
	s_waitcnt lgkmcnt(0)
	v_mul_f32_e32 v102, v39, v118
	v_mul_f32_e32 v36, v39, v117
	v_fmac_f32_e32 v102, v38, v117
	v_fma_f32 v114, v38, v118, -v36
	v_mul_f32_e32 v117, v41, v104
	v_mul_f32_e32 v36, v41, v103
	v_fmac_f32_e32 v117, v40, v103
	v_fma_f32 v103, v40, v104, -v36
	v_mul_f32_e32 v104, v43, v120
	ds_read2_b64 v[36:39], v112 offset0:76 offset1:174
	v_mul_f32_e32 v40, v43, v119
	v_fmac_f32_e32 v104, v42, v119
	v_fma_f32 v118, v42, v120, -v40
	ds_read2_b64 v[40:43], v110 offset0:16 offset1:114
	s_waitcnt lgkmcnt(1)
	v_mul_f32_e32 v119, v9, v37
	v_mul_f32_e32 v9, v9, v36
	v_fmac_f32_e32 v119, v8, v36
	v_fma_f32 v36, v8, v37, -v9
	s_waitcnt lgkmcnt(0)
	v_mul_f32_e32 v37, v11, v41
	v_mul_f32_e32 v8, v11, v40
	v_fmac_f32_e32 v37, v10, v40
	v_fma_f32 v40, v10, v41, -v8
	v_mul_f32_e32 v41, v25, v39
	v_mul_f32_e32 v8, v25, v38
	v_fmac_f32_e32 v41, v24, v38
	v_fma_f32 v38, v24, v39, -v8
	ds_read2_b64 v[8:11], v108 offset0:84 offset1:182
	v_mul_f32_e32 v39, v27, v43
	v_mul_f32_e32 v24, v27, v42
	v_fmac_f32_e32 v39, v26, v42
	v_fma_f32 v42, v26, v43, -v24
	ds_read2_b64 v[24:27], v106 offset0:152 offset1:250
	s_waitcnt lgkmcnt(1)
	v_mul_f32_e32 v43, v17, v9
	v_fmac_f32_e32 v43, v16, v8
	v_mul_f32_e32 v8, v17, v8
	v_fma_f32 v16, v16, v9, -v8
	s_waitcnt lgkmcnt(0)
	v_mul_f32_e32 v17, v19, v25
	v_mul_f32_e32 v8, v19, v24
	v_fmac_f32_e32 v17, v18, v24
	v_fma_f32 v18, v18, v25, -v8
	v_mul_f32_e32 v8, v13, v10
	v_mul_f32_e32 v120, v13, v11
	v_fma_f32 v121, v12, v11, -v8
	v_mul_f32_e32 v8, v15, v26
	v_fmac_f32_e32 v120, v12, v10
	v_fma_f32 v123, v14, v27, -v8
	ds_read2_b64 v[8:11], v111 offset1:98
	v_mul_f32_e32 v122, v15, v27
	v_fmac_f32_e32 v122, v14, v26
	v_add_f32_e32 v12, v113, v17
	v_add_f32_e32 v13, v101, v18
	v_sub_f32_e32 v14, v113, v17
	v_sub_f32_e32 v15, v101, v18
	v_add_f32_e32 v17, v102, v43
	v_add_f32_e32 v18, v114, v16
	v_sub_f32_e32 v19, v102, v43
	v_sub_f32_e32 v16, v114, v16
	;; [unrolled: 4-line block ×4, first 2 shown]
	v_sub_f32_e32 v101, v12, v24
	v_sub_f32_e32 v102, v13, v25
	;; [unrolled: 1-line block ×4, first 2 shown]
	v_add_f32_e32 v12, v26, v19
	v_add_f32_e32 v13, v27, v16
	;; [unrolled: 1-line block ×4, first 2 shown]
	v_sub_f32_e32 v36, v26, v19
	v_sub_f32_e32 v37, v27, v16
	;; [unrolled: 1-line block ×6, first 2 shown]
	v_add_f32_e32 v14, v12, v14
	v_add_f32_e32 v15, v13, v15
	s_waitcnt lgkmcnt(0)
	v_add_f32_e32 v12, v8, v24
	v_add_f32_e32 v13, v9, v25
	v_mov_b32_e32 v8, v12
	v_mov_b32_e32 v9, v13
	v_fmac_f32_e32 v8, 0xbf955555, v24
	v_fmac_f32_e32 v9, 0xbf955555, v25
	v_mul_f32_e32 v24, 0x3f4a47b2, v101
	v_mul_f32_e32 v25, 0x3d64c772, v17
	v_fma_f32 v25, v40, s7, -v25
	v_fma_f32 v40, v40, s6, -v24
	v_fmac_f32_e32 v24, 0x3d64c772, v17
	v_mul_f32_e32 v17, 0x3f4a47b2, v102
	v_mul_f32_e32 v102, 0x3f08b237, v36
	;; [unrolled: 1-line block ×4, first 2 shown]
	v_fma_f32 v19, v19, s8, -v102
	v_fmac_f32_e32 v102, 0xbeae86e6, v26
	v_fmac_f32_e32 v36, 0x3eae86e6, v26
	v_mul_f32_e32 v37, 0x3f08b237, v37
	v_mul_f32_e32 v26, 0x3f5ff5aa, v16
	v_fma_f32 v101, v43, s7, -v101
	v_fma_f32 v43, v43, s6, -v17
	v_fmac_f32_e32 v17, 0x3d64c772, v18
	v_fma_f32 v18, v16, s8, -v37
	v_fmac_f32_e32 v26, 0x3eae86e6, v27
	v_fmac_f32_e32 v37, 0xbeae86e6, v27
	v_add_f32_e32 v113, v24, v8
	v_add_f32_e32 v24, v25, v8
	;; [unrolled: 1-line block ×3, first 2 shown]
	v_fmac_f32_e32 v18, 0xbee1c552, v15
	v_fmac_f32_e32 v26, 0xbee1c552, v15
	v_add_f32_e32 v114, v17, v9
	v_add_f32_e32 v25, v101, v9
	;; [unrolled: 1-line block ×3, first 2 shown]
	v_fmac_f32_e32 v102, 0xbee1c552, v14
	v_fmac_f32_e32 v37, 0xbee1c552, v15
	;; [unrolled: 1-line block ×4, first 2 shown]
	v_sub_f32_e32 v16, v24, v18
	v_add_f32_e32 v18, v18, v24
	v_add_f32_e32 v24, v26, v8
	v_sub_f32_e32 v26, v8, v26
	v_add_f32_e32 v8, v117, v122
	v_add_f32_e32 v101, v104, v120
	;; [unrolled: 1-line block ×3, first 2 shown]
	v_sub_f32_e32 v15, v114, v102
	v_add_f32_e32 v17, v19, v25
	v_sub_f32_e32 v19, v25, v19
	v_sub_f32_e32 v25, v9, v36
	v_add_f32_e32 v27, v36, v9
	v_sub_f32_e32 v36, v113, v37
	v_add_f32_e32 v37, v102, v114
	v_add_f32_e32 v9, v103, v123
	;; [unrolled: 1-line block ×4, first 2 shown]
	v_sub_f32_e32 v39, v39, v41
	v_add_f32_e32 v41, v101, v8
	v_add_f32_e32 v114, v38, v42
	v_sub_f32_e32 v38, v42, v38
	v_add_f32_e32 v42, v102, v9
	v_add_f32_e32 v41, v113, v41
	v_sub_f32_e32 v40, v117, v122
	v_sub_f32_e32 v43, v103, v123
	;; [unrolled: 1-line block ×4, first 2 shown]
	v_add_f32_e32 v42, v114, v42
	v_add_f32_e32 v10, v10, v41
	v_sub_f32_e32 v117, v101, v8
	v_sub_f32_e32 v118, v102, v9
	;; [unrolled: 1-line block ×6, first 2 shown]
	v_add_f32_e32 v11, v11, v42
	v_add_f32_e32 v113, v39, v103
	;; [unrolled: 1-line block ×3, first 2 shown]
	v_sub_f32_e32 v119, v39, v103
	v_sub_f32_e32 v120, v38, v104
	;; [unrolled: 1-line block ×4, first 2 shown]
	v_mov_b32_e32 v121, v10
	v_sub_f32_e32 v39, v40, v39
	v_sub_f32_e32 v38, v43, v38
	v_add_f32_e32 v40, v113, v40
	v_add_f32_e32 v43, v114, v43
	v_mul_f32_e32 v113, 0x3f4a47b2, v8
	v_mul_f32_e32 v114, 0x3f4a47b2, v9
	;; [unrolled: 1-line block ×3, first 2 shown]
	v_fmac_f32_e32 v121, 0xbf955555, v41
	v_mov_b32_e32 v41, v11
	v_mul_f32_e32 v9, 0x3d64c772, v102
	v_mul_f32_e32 v119, 0x3f08b237, v119
	;; [unrolled: 1-line block ×5, first 2 shown]
	v_fmac_f32_e32 v41, 0xbf955555, v42
	v_fma_f32 v42, v117, s7, -v8
	v_fma_f32 v117, v117, s6, -v113
	v_fmac_f32_e32 v113, 0x3d64c772, v101
	v_fma_f32 v101, v118, s7, -v9
	v_fma_f32 v118, v118, s6, -v114
	v_fmac_f32_e32 v114, 0x3d64c772, v102
	v_fma_f32 v102, v103, s8, -v119
	v_fmac_f32_e32 v119, 0xbeae86e6, v39
	;; [unrolled: 2-line block ×3, first 2 shown]
	v_fmac_f32_e32 v122, 0x3eae86e6, v39
	v_fmac_f32_e32 v123, 0x3eae86e6, v38
	v_add_f32_e32 v113, v113, v121
	v_add_f32_e32 v114, v114, v41
	;; [unrolled: 1-line block ×6, first 2 shown]
	v_fmac_f32_e32 v119, 0xbee1c552, v40
	v_fmac_f32_e32 v120, 0xbee1c552, v43
	;; [unrolled: 1-line block ×6, first 2 shown]
	v_add_f32_e32 v38, v120, v113
	v_sub_f32_e32 v39, v114, v119
	v_sub_f32_e32 v40, v42, v103
	v_add_f32_e32 v41, v102, v101
	v_add_f32_e32 v42, v103, v42
	v_sub_f32_e32 v43, v101, v102
	v_add_f32_e32 v101, v123, v104
	v_sub_f32_e32 v102, v117, v122
	v_sub_f32_e32 v103, v104, v123
	v_add_f32_e32 v104, v122, v117
	v_sub_f32_e32 v113, v113, v120
	v_add_f32_e32 v114, v119, v114
	s_barrier
	ds_write2_b64 v115, v[12:13], v[14:15] offset1:4
	ds_write2_b64 v115, v[24:25], v[16:17] offset0:8 offset1:12
	ds_write2_b64 v115, v[18:19], v[26:27] offset0:16 offset1:20
	ds_write_b64 v115, v[36:37] offset:192
	ds_write2_b64 v116, v[10:11], v[38:39] offset1:4
	ds_write2_b64 v116, v[101:102], v[40:41] offset0:8 offset1:12
	ds_write2_b64 v116, v[42:43], v[103:104] offset0:16 offset1:20
	ds_write_b64 v116, v[113:114] offset:192
	s_waitcnt lgkmcnt(0)
	s_barrier
	ds_read2_b64 v[10:13], v111 offset1:98
	ds_read2_b64 v[14:17], v109 offset0:68 offset1:166
	ds_read2_b64 v[24:27], v107 offset0:136 offset1:234
	;; [unrolled: 1-line block ×6, first 2 shown]
	s_waitcnt lgkmcnt(5)
	v_mul_f32_e32 v18, v33, v15
	v_fmac_f32_e32 v18, v32, v14
	v_mul_f32_e32 v14, v33, v14
	v_fma_f32 v14, v32, v15, -v14
	s_waitcnt lgkmcnt(4)
	v_mul_f32_e32 v15, v35, v25
	v_mul_f32_e32 v19, v35, v24
	v_fmac_f32_e32 v15, v34, v24
	v_fma_f32 v19, v34, v25, -v19
	s_waitcnt lgkmcnt(3)
	v_mul_f32_e32 v24, v29, v37
	v_mul_f32_e32 v34, v5, v17
	;; [unrolled: 1-line block ×3, first 2 shown]
	v_fmac_f32_e32 v24, v28, v36
	v_mul_f32_e32 v25, v29, v36
	v_fmac_f32_e32 v34, v4, v16
	v_fma_f32 v35, v4, v17, -v5
	v_mul_f32_e32 v36, v7, v27
	v_mul_f32_e32 v4, v7, v26
	v_fmac_f32_e32 v36, v6, v26
	v_fma_f32 v26, v6, v27, -v4
	v_mul_f32_e32 v27, v1, v39
	v_mul_f32_e32 v1, v1, v38
	v_fma_f32 v25, v28, v37, -v25
	s_waitcnt lgkmcnt(2)
	v_mul_f32_e32 v28, v31, v41
	v_mul_f32_e32 v29, v31, v40
	v_fmac_f32_e32 v27, v0, v38
	v_fma_f32 v37, v0, v39, -v1
	v_mul_f32_e32 v0, v3, v42
	v_fmac_f32_e32 v28, v30, v40
	v_fma_f32 v29, v30, v41, -v29
	s_waitcnt lgkmcnt(1)
	v_mul_f32_e32 v30, v45, v102
	s_waitcnt lgkmcnt(0)
	v_mul_f32_e32 v32, v47, v114
	v_fma_f32 v39, v2, v43, -v0
	v_mul_f32_e32 v40, v21, v104
	v_mul_f32_e32 v0, v21, v103
	v_fmac_f32_e32 v30, v44, v101
	v_mul_f32_e32 v31, v45, v101
	v_fmac_f32_e32 v32, v46, v113
	;; [unrolled: 2-line block ×3, first 2 shown]
	v_fma_f32 v20, v20, v104, -v0
	v_mul_f32_e32 v21, v23, v116
	v_mul_f32_e32 v0, v23, v115
	v_fma_f32 v31, v44, v102, -v31
	v_fma_f32 v33, v46, v114, -v33
	v_mul_f32_e32 v38, v3, v43
	v_fmac_f32_e32 v21, v22, v115
	v_fma_f32 v22, v22, v116, -v0
	v_add_f32_e32 v0, v18, v32
	v_add_f32_e32 v4, v15, v30
	v_fmac_f32_e32 v38, v2, v42
	v_add_f32_e32 v1, v14, v33
	v_sub_f32_e32 v2, v18, v32
	v_sub_f32_e32 v3, v14, v33
	v_add_f32_e32 v5, v19, v31
	v_sub_f32_e32 v6, v15, v30
	v_add_f32_e32 v14, v24, v28
	;; [unrolled: 2-line block ×5, first 2 shown]
	v_sub_f32_e32 v23, v4, v0
	v_sub_f32_e32 v25, v0, v14
	;; [unrolled: 1-line block ×3, first 2 shown]
	v_add_f32_e32 v0, v16, v6
	v_add_f32_e32 v14, v14, v18
	v_sub_f32_e32 v24, v5, v1
	v_sub_f32_e32 v28, v1, v15
	;; [unrolled: 1-line block ×3, first 2 shown]
	v_add_f32_e32 v1, v17, v7
	v_sub_f32_e32 v29, v16, v6
	v_sub_f32_e32 v16, v2, v16
	;; [unrolled: 1-line block ×3, first 2 shown]
	v_add_f32_e32 v15, v15, v19
	v_add_f32_e32 v2, v0, v2
	;; [unrolled: 1-line block ×3, first 2 shown]
	v_sub_f32_e32 v30, v17, v7
	v_sub_f32_e32 v17, v3, v17
	;; [unrolled: 1-line block ×3, first 2 shown]
	v_add_f32_e32 v3, v1, v3
	v_add_f32_e32 v1, v11, v15
	v_mov_b32_e32 v31, v0
	v_mul_f32_e32 v10, 0x3f4a47b2, v25
	v_mul_f32_e32 v11, 0x3f4a47b2, v28
	;; [unrolled: 1-line block ×8, first 2 shown]
	v_fmac_f32_e32 v31, 0xbf955555, v14
	v_mov_b32_e32 v14, v1
	v_fmac_f32_e32 v14, 0xbf955555, v15
	v_fma_f32 v15, v23, s7, -v18
	v_fma_f32 v18, v24, s7, -v19
	;; [unrolled: 1-line block ×3, first 2 shown]
	v_fmac_f32_e32 v10, 0x3d64c772, v4
	v_fma_f32 v4, v24, s6, -v11
	v_fmac_f32_e32 v11, 0x3d64c772, v5
	v_fma_f32 v23, v6, s8, -v25
	v_fmac_f32_e32 v29, 0x3eae86e6, v16
	v_fmac_f32_e32 v30, 0x3eae86e6, v17
	;; [unrolled: 1-line block ×3, first 2 shown]
	v_fma_f32 v24, v7, s8, -v28
	v_fmac_f32_e32 v28, 0xbeae86e6, v17
	v_add_f32_e32 v16, v10, v31
	v_add_f32_e32 v17, v11, v14
	;; [unrolled: 1-line block ×6, first 2 shown]
	v_fmac_f32_e32 v23, 0xbee1c552, v2
	v_fmac_f32_e32 v29, 0xbee1c552, v2
	;; [unrolled: 1-line block ×4, first 2 shown]
	v_add_f32_e32 v4, v30, v15
	v_sub_f32_e32 v5, v18, v29
	v_add_f32_e32 v7, v23, v11
	v_sub_f32_e32 v11, v11, v23
	v_sub_f32_e32 v14, v15, v30
	v_add_f32_e32 v15, v29, v18
	v_add_f32_e32 v18, v34, v21
	;; [unrolled: 1-line block ×3, first 2 shown]
	v_fmac_f32_e32 v28, 0xbee1c552, v3
	v_sub_f32_e32 v6, v10, v24
	v_add_f32_e32 v10, v24, v10
	v_add_f32_e32 v19, v35, v22
	;; [unrolled: 1-line block ×3, first 2 shown]
	v_sub_f32_e32 v20, v26, v20
	v_add_f32_e32 v26, v27, v38
	v_add_f32_e32 v30, v23, v18
	v_fmac_f32_e32 v25, 0xbee1c552, v2
	v_add_f32_e32 v2, v28, v16
	v_sub_f32_e32 v16, v16, v28
	v_add_f32_e32 v28, v37, v39
	v_add_f32_e32 v31, v24, v19
	v_sub_f32_e32 v32, v23, v18
	v_sub_f32_e32 v18, v18, v26
	;; [unrolled: 1-line block ×3, first 2 shown]
	v_add_f32_e32 v26, v26, v30
	v_sub_f32_e32 v3, v17, v25
	v_add_f32_e32 v17, v25, v17
	v_sub_f32_e32 v21, v34, v21
	v_sub_f32_e32 v22, v35, v22
	;; [unrolled: 1-line block ×8, first 2 shown]
	v_add_f32_e32 v28, v28, v31
	v_add_f32_e32 v12, v12, v26
	;; [unrolled: 1-line block ×4, first 2 shown]
	v_sub_f32_e32 v36, v27, v25
	v_sub_f32_e32 v37, v29, v20
	;; [unrolled: 1-line block ×4, first 2 shown]
	v_add_f32_e32 v13, v13, v28
	v_mov_b32_e32 v38, v12
	v_sub_f32_e32 v27, v21, v27
	v_sub_f32_e32 v29, v22, v29
	v_add_f32_e32 v21, v34, v21
	v_add_f32_e32 v22, v35, v22
	v_mul_f32_e32 v18, 0x3f4a47b2, v18
	v_mul_f32_e32 v19, 0x3f4a47b2, v19
	;; [unrolled: 1-line block ×8, first 2 shown]
	v_fmac_f32_e32 v38, 0xbf955555, v26
	v_mov_b32_e32 v26, v13
	v_fmac_f32_e32 v26, 0xbf955555, v28
	v_fma_f32 v28, v32, s7, -v30
	v_fma_f32 v30, v33, s7, -v31
	;; [unrolled: 1-line block ×3, first 2 shown]
	v_fmac_f32_e32 v18, 0x3d64c772, v23
	v_fma_f32 v23, v33, s6, -v19
	v_fmac_f32_e32 v19, 0x3d64c772, v24
	v_fma_f32 v25, v25, s8, -v34
	;; [unrolled: 2-line block ×3, first 2 shown]
	v_fmac_f32_e32 v35, 0xbeae86e6, v29
	v_fmac_f32_e32 v36, 0x3eae86e6, v27
	;; [unrolled: 1-line block ×3, first 2 shown]
	v_add_f32_e32 v29, v18, v38
	v_add_f32_e32 v32, v19, v26
	;; [unrolled: 1-line block ×6, first 2 shown]
	v_fmac_f32_e32 v34, 0xbee1c552, v21
	v_fmac_f32_e32 v35, 0xbee1c552, v22
	;; [unrolled: 1-line block ×6, first 2 shown]
	v_add_f32_e32 v18, v35, v29
	v_sub_f32_e32 v19, v32, v34
	v_add_f32_e32 v20, v37, v30
	v_sub_f32_e32 v21, v31, v36
	v_sub_f32_e32 v22, v27, v24
	v_add_f32_e32 v23, v25, v28
	v_add_f32_e32 v24, v24, v27
	v_sub_f32_e32 v25, v28, v25
	v_sub_f32_e32 v26, v30, v37
	v_add_f32_e32 v27, v36, v31
	v_sub_f32_e32 v28, v29, v35
	v_add_f32_e32 v29, v34, v32
	s_barrier
	ds_write2_b64 v131, v[0:1], v[2:3] offset1:28
	ds_write2_b64 v131, v[4:5], v[6:7] offset0:56 offset1:84
	ds_write2_b64 v131, v[10:11], v[14:15] offset0:112 offset1:140
	ds_write_b64 v131, v[16:17] offset:1344
	ds_write2_b64 v132, v[12:13], v[18:19] offset1:28
	ds_write2_b64 v132, v[20:21], v[22:23] offset0:56 offset1:84
	ds_write2_b64 v132, v[24:25], v[26:27] offset0:112 offset1:140
	ds_write_b64 v132, v[28:29] offset:1344
	s_waitcnt lgkmcnt(0)
	s_barrier
	ds_read2_b64 v[0:3], v111 offset1:98
	ds_read2_b64 v[4:7], v109 offset0:68 offset1:166
	ds_read2_b64 v[10:13], v107 offset0:136 offset1:234
	;; [unrolled: 1-line block ×6, first 2 shown]
	s_waitcnt lgkmcnt(5)
	v_mul_f32_e32 v30, v49, v5
	v_fmac_f32_e32 v30, v48, v4
	v_mul_f32_e32 v4, v49, v4
	v_fma_f32 v4, v48, v5, -v4
	s_waitcnt lgkmcnt(4)
	v_mul_f32_e32 v5, v51, v11
	v_fmac_f32_e32 v5, v50, v10
	v_mul_f32_e32 v10, v51, v10
	v_fma_f32 v10, v50, v11, -v10
	;; [unrolled: 5-line block ×6, first 2 shown]
	v_mul_f32_e32 v27, v53, v7
	v_fmac_f32_e32 v27, v52, v6
	v_mul_f32_e32 v6, v53, v6
	v_fma_f32 v31, v52, v7, -v6
	v_mul_f32_e32 v6, v55, v12
	v_fma_f32 v33, v54, v13, -v6
	v_mul_f32_e32 v6, v57, v16
	v_fma_f32 v35, v56, v17, -v6
	v_mul_f32_e32 v36, v59, v21
	v_mul_f32_e32 v6, v59, v20
	v_fmac_f32_e32 v36, v58, v20
	v_fma_f32 v20, v58, v21, -v6
	v_mul_f32_e32 v21, v61, v25
	v_mul_f32_e32 v6, v61, v24
	v_fmac_f32_e32 v21, v60, v24
	v_fma_f32 v24, v60, v25, -v6
	v_mul_f32_e32 v25, v63, v29
	v_mul_f32_e32 v6, v63, v28
	;; [unrolled: 1-line block ×4, first 2 shown]
	v_fmac_f32_e32 v25, v62, v28
	v_fma_f32 v28, v62, v29, -v6
	v_add_f32_e32 v6, v30, v23
	v_add_f32_e32 v13, v5, v19
	v_fmac_f32_e32 v34, v56, v16
	v_add_f32_e32 v7, v4, v26
	v_add_f32_e32 v16, v10, v22
	;; [unrolled: 1-line block ×3, first 2 shown]
	v_sub_f32_e32 v11, v15, v11
	v_add_f32_e32 v15, v13, v6
	v_sub_f32_e32 v5, v5, v19
	v_add_f32_e32 v19, v14, v18
	;; [unrolled: 2-line block ×3, first 2 shown]
	v_add_f32_e32 v15, v17, v15
	v_sub_f32_e32 v4, v4, v26
	v_sub_f32_e32 v10, v10, v22
	;; [unrolled: 1-line block ×5, first 2 shown]
	v_add_f32_e32 v17, v19, v18
	v_add_f32_e32 v0, v0, v15
	v_fmac_f32_e32 v32, v54, v12
	v_sub_f32_e32 v12, v30, v23
	v_sub_f32_e32 v23, v16, v7
	v_sub_f32_e32 v16, v19, v16
	v_add_f32_e32 v29, v14, v10
	v_sub_f32_e32 v37, v14, v10
	v_sub_f32_e32 v10, v10, v4
	v_add_f32_e32 v1, v1, v17
	v_mov_b32_e32 v38, v0
	v_sub_f32_e32 v7, v7, v19
	v_add_f32_e32 v26, v11, v5
	v_sub_f32_e32 v30, v11, v5
	v_sub_f32_e32 v14, v4, v14
	;; [unrolled: 1-line block ×3, first 2 shown]
	v_add_f32_e32 v4, v29, v4
	v_mul_f32_e32 v6, 0x3f4a47b2, v6
	v_mul_f32_e32 v18, 0x3d64c772, v13
	;; [unrolled: 1-line block ×5, first 2 shown]
	v_fmac_f32_e32 v38, 0xbf955555, v15
	v_mov_b32_e32 v15, v1
	v_sub_f32_e32 v11, v12, v11
	v_add_f32_e32 v12, v26, v12
	v_mul_f32_e32 v7, 0x3f4a47b2, v7
	v_mul_f32_e32 v26, 0x3f08b237, v30
	;; [unrolled: 1-line block ×3, first 2 shown]
	v_fmac_f32_e32 v15, 0xbf955555, v17
	v_fma_f32 v17, v22, s7, -v18
	v_fma_f32 v18, v23, s7, -v19
	;; [unrolled: 1-line block ×4, first 2 shown]
	v_fmac_f32_e32 v37, 0x3eae86e6, v14
	v_fmac_f32_e32 v6, 0x3d64c772, v13
	v_fma_f32 v13, v23, s6, -v7
	v_fmac_f32_e32 v7, 0x3d64c772, v16
	v_fma_f32 v16, v5, s8, -v26
	v_fmac_f32_e32 v26, 0xbeae86e6, v11
	v_fmac_f32_e32 v29, 0xbeae86e6, v14
	;; [unrolled: 1-line block ×3, first 2 shown]
	v_add_f32_e32 v14, v17, v38
	v_add_f32_e32 v17, v18, v15
	;; [unrolled: 1-line block ×3, first 2 shown]
	v_fmac_f32_e32 v22, 0xbee1c552, v4
	v_fmac_f32_e32 v37, 0xbee1c552, v4
	v_add_f32_e32 v23, v6, v38
	v_add_f32_e32 v39, v7, v15
	;; [unrolled: 1-line block ×3, first 2 shown]
	v_fmac_f32_e32 v26, 0xbee1c552, v12
	v_fmac_f32_e32 v16, 0xbee1c552, v12
	;; [unrolled: 1-line block ×3, first 2 shown]
	v_add_f32_e32 v6, v37, v18
	v_sub_f32_e32 v10, v14, v22
	v_add_f32_e32 v12, v22, v14
	v_sub_f32_e32 v14, v18, v37
	;; [unrolled: 2-line block ×3, first 2 shown]
	v_add_f32_e32 v25, v32, v21
	v_fmac_f32_e32 v29, 0xbee1c552, v4
	v_sub_f32_e32 v5, v39, v26
	v_sub_f32_e32 v7, v15, v30
	v_add_f32_e32 v11, v16, v17
	v_sub_f32_e32 v13, v17, v16
	v_add_f32_e32 v15, v30, v15
	v_add_f32_e32 v17, v26, v39
	;; [unrolled: 1-line block ×7, first 2 shown]
	v_sub_f32_e32 v16, v23, v29
	v_sub_f32_e32 v23, v31, v28
	;; [unrolled: 1-line block ×3, first 2 shown]
	v_add_f32_e32 v28, v35, v20
	v_add_f32_e32 v31, v26, v19
	v_sub_f32_e32 v32, v25, v18
	v_sub_f32_e32 v18, v18, v27
	;; [unrolled: 1-line block ×3, first 2 shown]
	v_add_f32_e32 v27, v27, v30
	v_sub_f32_e32 v24, v33, v24
	v_sub_f32_e32 v29, v36, v34
	;; [unrolled: 1-line block ×6, first 2 shown]
	v_add_f32_e32 v28, v28, v31
	v_add_f32_e32 v2, v2, v27
	;; [unrolled: 1-line block ×4, first 2 shown]
	v_sub_f32_e32 v36, v29, v21
	v_sub_f32_e32 v37, v20, v24
	;; [unrolled: 1-line block ×4, first 2 shown]
	v_add_f32_e32 v3, v3, v28
	v_mov_b32_e32 v38, v2
	v_sub_f32_e32 v29, v22, v29
	v_sub_f32_e32 v20, v23, v20
	v_add_f32_e32 v22, v34, v22
	v_add_f32_e32 v23, v35, v23
	v_mul_f32_e32 v18, 0x3f4a47b2, v18
	v_mul_f32_e32 v19, 0x3f4a47b2, v19
	;; [unrolled: 1-line block ×8, first 2 shown]
	v_fmac_f32_e32 v38, 0xbf955555, v27
	v_mov_b32_e32 v27, v3
	v_fmac_f32_e32 v27, 0xbf955555, v28
	v_fma_f32 v28, v32, s7, -v30
	v_fma_f32 v30, v33, s7, -v31
	;; [unrolled: 1-line block ×3, first 2 shown]
	v_fmac_f32_e32 v18, 0x3d64c772, v25
	v_fma_f32 v25, v33, s6, -v19
	v_fmac_f32_e32 v19, 0x3d64c772, v26
	v_fma_f32 v26, v21, s8, -v34
	;; [unrolled: 2-line block ×3, first 2 shown]
	v_fmac_f32_e32 v35, 0xbeae86e6, v20
	v_fmac_f32_e32 v36, 0x3eae86e6, v29
	;; [unrolled: 1-line block ×3, first 2 shown]
	v_mad_u64_u32 v[8:9], s[10:11], s2, v90, 0
	v_add_f32_e32 v29, v18, v38
	v_add_f32_e32 v32, v19, v27
	;; [unrolled: 1-line block ×6, first 2 shown]
	v_fmac_f32_e32 v34, 0xbee1c552, v22
	v_fmac_f32_e32 v35, 0xbee1c552, v23
	;; [unrolled: 1-line block ×6, first 2 shown]
	v_add_f32_e32 v18, v35, v29
	v_sub_f32_e32 v19, v32, v34
	v_add_f32_e32 v20, v37, v31
	v_sub_f32_e32 v21, v27, v36
	v_sub_f32_e32 v22, v28, v24
	v_add_f32_e32 v23, v26, v30
	v_add_f32_e32 v24, v24, v28
	v_sub_f32_e32 v25, v30, v26
	v_sub_f32_e32 v26, v31, v37
	v_add_f32_e32 v27, v36, v27
	v_sub_f32_e32 v28, v29, v35
	v_add_f32_e32 v29, v34, v32
	ds_write_b64 v111, v[12:13] offset:6272
	ds_write_b64 v111, v[14:15] offset:7840
	;; [unrolled: 1-line block ×3, first 2 shown]
	ds_write2_b64 v111, v[0:1], v[2:3] offset1:98
	ds_write2_b64 v109, v[4:5], v[18:19] offset0:68 offset1:166
	ds_write2_b64 v107, v[6:7], v[20:21] offset0:136 offset1:234
	;; [unrolled: 1-line block ×3, first 2 shown]
	ds_write_b64 v111, v[24:25] offset:7056
	ds_write_b64 v111, v[26:27] offset:8624
	ds_write_b64 v111, v[28:29] offset:10192
	s_waitcnt lgkmcnt(0)
	s_barrier
	ds_read2_b64 v[0:3], v111 offset1:98
	v_mov_b32_e32 v4, v9
	v_mad_u64_u32 v[4:5], s[2:3], s3, v90, v[4:5]
	s_mov_b32 s2, 0x515a4f1d
	s_waitcnt lgkmcnt(0)
	v_mul_f32_e32 v5, v96, v1
	v_fmac_f32_e32 v5, v95, v0
	v_cvt_f64_f32_e32 v[5:6], v5
	s_mov_b32 s3, 0x3f47e225
	v_mul_f32_e32 v0, v96, v0
	v_fma_f32 v0, v95, v1, -v0
	v_mul_f64 v[5:6], v[5:6], s[2:3]
	v_cvt_f64_f32_e32 v[0:1], v0
	v_mad_u64_u32 v[10:11], s[6:7], s0, v105, 0
	v_mov_b32_e32 v9, v4
	v_mul_f64 v[0:1], v[0:1], s[2:3]
	v_mov_b32_e32 v4, v11
	v_mov_b32_e32 v14, s5
	v_mad_u64_u32 v[11:12], s[6:7], s1, v105, v[4:5]
	v_cvt_f32_f64_e32 v12, v[5:6]
	ds_read2_b64 v[4:7], v112 offset0:76 offset1:174
	s_mul_hi_u32 s5, s0, 0x1570
	v_cvt_f32_f64_e32 v13, v[0:1]
	v_lshlrev_b64 v[0:1], 3, v[8:9]
	s_mul_hi_u32 s6, s0, 0xffffeda0
	s_waitcnt lgkmcnt(0)
	v_mul_f32_e32 v8, v100, v7
	v_fmac_f32_e32 v8, v99, v6
	v_mul_f32_e32 v6, v100, v6
	v_fma_f32 v6, v99, v7, -v6
	v_cvt_f64_f32_e32 v[8:9], v8
	v_cvt_f64_f32_e32 v[6:7], v6
	v_add_co_u32_e32 v15, vcc, s4, v0
	v_addc_co_u32_e32 v14, vcc, v14, v1, vcc
	v_mul_f64 v[0:1], v[8:9], s[2:3]
	v_mul_f64 v[6:7], v[6:7], s[2:3]
	v_lshlrev_b64 v[8:9], 3, v[10:11]
	s_mul_i32 s4, s1, 0x1570
	v_add_co_u32_e32 v8, vcc, v15, v8
	v_addc_co_u32_e32 v9, vcc, v14, v9, vcc
	v_cvt_f32_f64_e32 v0, v[0:1]
	v_cvt_f32_f64_e32 v1, v[6:7]
	v_mul_f32_e32 v6, v98, v3
	v_fmac_f32_e32 v6, v97, v2
	v_mul_f32_e32 v2, v98, v2
	v_fma_f32 v2, v97, v3, -v2
	v_cvt_f64_f32_e32 v[2:3], v2
	v_cvt_f64_f32_e32 v[6:7], v6
	s_add_i32 s4, s5, s4
	s_mul_i32 s5, s0, 0x1570
	v_mul_f64 v[2:3], v[2:3], s[2:3]
	v_mul_f64 v[6:7], v[6:7], s[2:3]
	v_mov_b32_e32 v11, s4
	v_add_co_u32_e32 v10, vcc, s5, v8
	v_addc_co_u32_e32 v11, vcc, v9, v11, vcc
	global_store_dwordx2 v[8:9], v[12:13], off
	global_store_dwordx2 v[10:11], v[0:1], off
	v_cvt_f32_f64_e32 v13, v[2:3]
	ds_read2_b64 v[0:3], v110 offset0:16 offset1:114
	v_cvt_f32_f64_e32 v12, v[6:7]
	s_mulk_i32 s1, 0xeda0
	s_sub_i32 s6, s6, s0
	s_add_i32 s1, s6, s1
	s_waitcnt lgkmcnt(0)
	v_mul_f32_e32 v6, v94, v1
	v_fmac_f32_e32 v6, v93, v0
	v_cvt_f64_f32_e32 v[6:7], v6
	v_mul_f32_e32 v0, v94, v0
	v_fma_f32 v0, v93, v1, -v0
	v_cvt_f64_f32_e32 v[0:1], v0
	v_mul_f64 v[14:15], v[6:7], s[2:3]
	ds_read2_b64 v[6:9], v109 offset0:68 offset1:166
	s_mulk_i32 s0, 0xeda0
	v_mov_b32_e32 v16, s1
	v_mul_f64 v[0:1], v[0:1], s[2:3]
	v_add_co_u32_e32 v10, vcc, s0, v10
	v_addc_co_u32_e32 v11, vcc, v11, v16, vcc
	global_store_dwordx2 v[10:11], v[12:13], off
	s_waitcnt lgkmcnt(0)
	v_mul_f32_e32 v12, v92, v7
	v_fmac_f32_e32 v12, v91, v6
	v_cvt_f64_f32_e32 v[12:13], v12
	v_mul_f32_e32 v6, v92, v6
	v_fma_f32 v6, v91, v7, -v6
	v_cvt_f32_f64_e32 v14, v[14:15]
	v_cvt_f32_f64_e32 v15, v[0:1]
	v_mul_f64 v[0:1], v[12:13], s[2:3]
	v_cvt_f64_f32_e32 v[6:7], v6
	v_mov_b32_e32 v16, s4
	v_add_co_u32_e32 v10, vcc, s5, v10
	v_mul_f64 v[6:7], v[6:7], s[2:3]
	v_addc_co_u32_e32 v11, vcc, v11, v16, vcc
	v_cvt_f32_f64_e32 v0, v[0:1]
	v_mul_f32_e32 v1, v89, v3
	v_fmac_f32_e32 v1, v88, v2
	v_cvt_f64_f32_e32 v[12:13], v1
	v_mul_f32_e32 v1, v89, v2
	v_fma_f32 v1, v88, v3, -v1
	v_cvt_f64_f32_e32 v[2:3], v1
	v_cvt_f32_f64_e32 v1, v[6:7]
	global_store_dwordx2 v[10:11], v[14:15], off
	v_mov_b32_e32 v14, s1
	v_add_co_u32_e32 v10, vcc, s0, v10
	v_addc_co_u32_e32 v11, vcc, v11, v14, vcc
	v_mul_f64 v[6:7], v[12:13], s[2:3]
	v_mul_f64 v[2:3], v[2:3], s[2:3]
	global_store_dwordx2 v[10:11], v[0:1], off
	v_mul_f32_e32 v0, v87, v9
	v_fmac_f32_e32 v0, v86, v8
	v_cvt_f64_f32_e32 v[0:1], v0
	v_mov_b32_e32 v14, s4
	v_add_co_u32_e32 v10, vcc, s5, v10
	v_mul_f64 v[12:13], v[0:1], s[2:3]
	v_mul_f32_e32 v0, v87, v8
	v_fma_f32 v0, v86, v9, -v0
	v_cvt_f32_f64_e32 v6, v[6:7]
	v_cvt_f32_f64_e32 v7, v[2:3]
	v_cvt_f64_f32_e32 v[8:9], v0
	ds_read2_b64 v[0:3], v108 offset0:84 offset1:182
	v_addc_co_u32_e32 v11, vcc, v11, v14, vcc
	global_store_dwordx2 v[10:11], v[6:7], off
	v_mul_f64 v[6:7], v[8:9], s[2:3]
	s_waitcnt lgkmcnt(0)
	v_mul_f32_e32 v8, v85, v1
	v_fmac_f32_e32 v8, v84, v0
	v_mul_f32_e32 v0, v85, v0
	v_fma_f32 v0, v84, v1, -v0
	v_cvt_f64_f32_e32 v[0:1], v0
	v_cvt_f64_f32_e32 v[8:9], v8
	v_cvt_f32_f64_e32 v12, v[12:13]
	v_cvt_f32_f64_e32 v13, v[6:7]
	v_mul_f64 v[0:1], v[0:1], s[2:3]
	v_mov_b32_e32 v6, s1
	v_add_co_u32_e32 v10, vcc, s0, v10
	v_mul_f64 v[14:15], v[8:9], s[2:3]
	v_addc_co_u32_e32 v11, vcc, v11, v6, vcc
	ds_read2_b64 v[6:9], v107 offset0:136 offset1:234
	global_store_dwordx2 v[10:11], v[12:13], off
	v_cvt_f32_f64_e32 v13, v[0:1]
	v_add_co_u32_e32 v10, vcc, s5, v10
	s_waitcnt lgkmcnt(0)
	v_mul_f32_e32 v0, v83, v7
	v_fmac_f32_e32 v0, v82, v6
	v_mul_f32_e32 v6, v83, v6
	v_fma_f32 v6, v82, v7, -v6
	v_cvt_f64_f32_e32 v[0:1], v0
	v_cvt_f64_f32_e32 v[6:7], v6
	v_cvt_f32_f64_e32 v12, v[14:15]
	v_mov_b32_e32 v14, s4
	v_addc_co_u32_e32 v11, vcc, v11, v14, vcc
	v_mul_f64 v[0:1], v[0:1], s[2:3]
	v_mul_f64 v[6:7], v[6:7], s[2:3]
	global_store_dwordx2 v[10:11], v[12:13], off
	v_mul_f32_e32 v12, v81, v3
	v_fmac_f32_e32 v12, v80, v2
	v_mul_f32_e32 v2, v81, v2
	v_fma_f32 v2, v80, v3, -v2
	v_cvt_f64_f32_e32 v[12:13], v12
	v_cvt_f64_f32_e32 v[2:3], v2
	v_cvt_f32_f64_e32 v0, v[0:1]
	v_cvt_f32_f64_e32 v1, v[6:7]
	v_mul_f64 v[6:7], v[12:13], s[2:3]
	v_mul_f64 v[2:3], v[2:3], s[2:3]
	v_mov_b32_e32 v12, s1
	v_add_co_u32_e32 v10, vcc, s0, v10
	v_addc_co_u32_e32 v11, vcc, v11, v12, vcc
	global_store_dwordx2 v[10:11], v[0:1], off
	v_mul_f32_e32 v0, v79, v9
	v_fmac_f32_e32 v0, v78, v8
	v_cvt_f64_f32_e32 v[12:13], v0
	v_mul_f32_e32 v0, v79, v8
	v_fma_f32 v0, v78, v9, -v0
	v_cvt_f32_f64_e32 v6, v[6:7]
	v_cvt_f32_f64_e32 v7, v[2:3]
	v_cvt_f64_f32_e32 v[8:9], v0
	ds_read2_b64 v[0:3], v106 offset0:152 offset1:250
	v_add_co_u32_e32 v10, vcc, s5, v10
	v_addc_co_u32_e32 v11, vcc, v11, v14, vcc
	global_store_dwordx2 v[10:11], v[6:7], off
	v_mul_f64 v[6:7], v[12:13], s[2:3]
	s_waitcnt lgkmcnt(0)
	v_mul_f32_e32 v12, v77, v1
	v_fmac_f32_e32 v12, v76, v0
	v_mul_f32_e32 v0, v77, v0
	v_fma_f32 v0, v76, v1, -v0
	v_mul_f64 v[8:9], v[8:9], s[2:3]
	v_cvt_f64_f32_e32 v[0:1], v0
	v_cvt_f64_f32_e32 v[12:13], v12
	v_cvt_f32_f64_e32 v6, v[6:7]
	v_add_co_u32_e32 v10, vcc, s0, v10
	v_mul_f64 v[0:1], v[0:1], s[2:3]
	v_cvt_f32_f64_e32 v7, v[8:9]
	v_mul_f64 v[8:9], v[12:13], s[2:3]
	v_mov_b32_e32 v12, s1
	v_addc_co_u32_e32 v11, vcc, v11, v12, vcc
	global_store_dwordx2 v[10:11], v[6:7], off
	v_cvt_f32_f64_e32 v7, v[0:1]
	v_mul_f32_e32 v0, v75, v5
	v_fmac_f32_e32 v0, v74, v4
	v_mul_f32_e32 v4, v75, v4
	v_fma_f32 v4, v74, v5, -v4
	v_cvt_f64_f32_e32 v[0:1], v0
	v_cvt_f64_f32_e32 v[4:5], v4
	v_cvt_f32_f64_e32 v6, v[8:9]
	v_mov_b32_e32 v9, s4
	v_add_co_u32_e32 v8, vcc, s5, v10
	v_addc_co_u32_e32 v9, vcc, v11, v9, vcc
	v_mul_f64 v[0:1], v[0:1], s[2:3]
	v_mul_f64 v[4:5], v[4:5], s[2:3]
	global_store_dwordx2 v[8:9], v[6:7], off
	v_mul_f32_e32 v6, v73, v3
	v_fmac_f32_e32 v6, v72, v2
	v_mul_f32_e32 v2, v73, v2
	v_fma_f32 v2, v72, v3, -v2
	v_cvt_f64_f32_e32 v[6:7], v6
	v_cvt_f64_f32_e32 v[2:3], v2
	v_cvt_f32_f64_e32 v0, v[0:1]
	v_cvt_f32_f64_e32 v1, v[4:5]
	v_mul_f64 v[4:5], v[6:7], s[2:3]
	v_mul_f64 v[2:3], v[2:3], s[2:3]
	v_mov_b32_e32 v7, s1
	v_add_co_u32_e32 v6, vcc, s0, v8
	v_addc_co_u32_e32 v7, vcc, v9, v7, vcc
	global_store_dwordx2 v[6:7], v[0:1], off
	v_cvt_f32_f64_e32 v0, v[4:5]
	v_cvt_f32_f64_e32 v1, v[2:3]
	v_mov_b32_e32 v3, s4
	v_add_co_u32_e32 v2, vcc, s5, v6
	v_addc_co_u32_e32 v3, vcc, v7, v3, vcc
	global_store_dwordx2 v[2:3], v[0:1], off
.LBB0_2:
	s_endpgm
	.section	.rodata,"a",@progbits
	.p2align	6, 0x0
	.amdhsa_kernel bluestein_single_back_len1372_dim1_sp_op_CI_CI
		.amdhsa_group_segment_fixed_size 21952
		.amdhsa_private_segment_fixed_size 0
		.amdhsa_kernarg_size 104
		.amdhsa_user_sgpr_count 6
		.amdhsa_user_sgpr_private_segment_buffer 1
		.amdhsa_user_sgpr_dispatch_ptr 0
		.amdhsa_user_sgpr_queue_ptr 0
		.amdhsa_user_sgpr_kernarg_segment_ptr 1
		.amdhsa_user_sgpr_dispatch_id 0
		.amdhsa_user_sgpr_flat_scratch_init 0
		.amdhsa_user_sgpr_private_segment_size 0
		.amdhsa_uses_dynamic_stack 0
		.amdhsa_system_sgpr_private_segment_wavefront_offset 0
		.amdhsa_system_sgpr_workgroup_id_x 1
		.amdhsa_system_sgpr_workgroup_id_y 0
		.amdhsa_system_sgpr_workgroup_id_z 0
		.amdhsa_system_sgpr_workgroup_info 0
		.amdhsa_system_vgpr_workitem_id 0
		.amdhsa_next_free_vgpr 183
		.amdhsa_next_free_sgpr 20
		.amdhsa_reserve_vcc 1
		.amdhsa_reserve_flat_scratch 0
		.amdhsa_float_round_mode_32 0
		.amdhsa_float_round_mode_16_64 0
		.amdhsa_float_denorm_mode_32 3
		.amdhsa_float_denorm_mode_16_64 3
		.amdhsa_dx10_clamp 1
		.amdhsa_ieee_mode 1
		.amdhsa_fp16_overflow 0
		.amdhsa_exception_fp_ieee_invalid_op 0
		.amdhsa_exception_fp_denorm_src 0
		.amdhsa_exception_fp_ieee_div_zero 0
		.amdhsa_exception_fp_ieee_overflow 0
		.amdhsa_exception_fp_ieee_underflow 0
		.amdhsa_exception_fp_ieee_inexact 0
		.amdhsa_exception_int_div_zero 0
	.end_amdhsa_kernel
	.text
.Lfunc_end0:
	.size	bluestein_single_back_len1372_dim1_sp_op_CI_CI, .Lfunc_end0-bluestein_single_back_len1372_dim1_sp_op_CI_CI
                                        ; -- End function
	.section	.AMDGPU.csdata,"",@progbits
; Kernel info:
; codeLenInByte = 12856
; NumSgprs: 24
; NumVgprs: 183
; ScratchSize: 0
; MemoryBound: 0
; FloatMode: 240
; IeeeMode: 1
; LDSByteSize: 21952 bytes/workgroup (compile time only)
; SGPRBlocks: 2
; VGPRBlocks: 45
; NumSGPRsForWavesPerEU: 24
; NumVGPRsForWavesPerEU: 183
; Occupancy: 1
; WaveLimiterHint : 1
; COMPUTE_PGM_RSRC2:SCRATCH_EN: 0
; COMPUTE_PGM_RSRC2:USER_SGPR: 6
; COMPUTE_PGM_RSRC2:TRAP_HANDLER: 0
; COMPUTE_PGM_RSRC2:TGID_X_EN: 1
; COMPUTE_PGM_RSRC2:TGID_Y_EN: 0
; COMPUTE_PGM_RSRC2:TGID_Z_EN: 0
; COMPUTE_PGM_RSRC2:TIDIG_COMP_CNT: 0
	.type	__hip_cuid_c071815b7c6ac9b9,@object ; @__hip_cuid_c071815b7c6ac9b9
	.section	.bss,"aw",@nobits
	.globl	__hip_cuid_c071815b7c6ac9b9
__hip_cuid_c071815b7c6ac9b9:
	.byte	0                               ; 0x0
	.size	__hip_cuid_c071815b7c6ac9b9, 1

	.ident	"AMD clang version 19.0.0git (https://github.com/RadeonOpenCompute/llvm-project roc-6.4.0 25133 c7fe45cf4b819c5991fe208aaa96edf142730f1d)"
	.section	".note.GNU-stack","",@progbits
	.addrsig
	.addrsig_sym __hip_cuid_c071815b7c6ac9b9
	.amdgpu_metadata
---
amdhsa.kernels:
  - .args:
      - .actual_access:  read_only
        .address_space:  global
        .offset:         0
        .size:           8
        .value_kind:     global_buffer
      - .actual_access:  read_only
        .address_space:  global
        .offset:         8
        .size:           8
        .value_kind:     global_buffer
      - .actual_access:  read_only
        .address_space:  global
        .offset:         16
        .size:           8
        .value_kind:     global_buffer
      - .actual_access:  read_only
        .address_space:  global
        .offset:         24
        .size:           8
        .value_kind:     global_buffer
      - .actual_access:  read_only
        .address_space:  global
        .offset:         32
        .size:           8
        .value_kind:     global_buffer
      - .offset:         40
        .size:           8
        .value_kind:     by_value
      - .address_space:  global
        .offset:         48
        .size:           8
        .value_kind:     global_buffer
      - .address_space:  global
        .offset:         56
        .size:           8
        .value_kind:     global_buffer
      - .address_space:  global
        .offset:         64
        .size:           8
        .value_kind:     global_buffer
      - .address_space:  global
        .offset:         72
        .size:           8
        .value_kind:     global_buffer
      - .offset:         80
        .size:           4
        .value_kind:     by_value
      - .address_space:  global
        .offset:         88
        .size:           8
        .value_kind:     global_buffer
      - .address_space:  global
        .offset:         96
        .size:           8
        .value_kind:     global_buffer
    .group_segment_fixed_size: 21952
    .kernarg_segment_align: 8
    .kernarg_segment_size: 104
    .language:       OpenCL C
    .language_version:
      - 2
      - 0
    .max_flat_workgroup_size: 196
    .name:           bluestein_single_back_len1372_dim1_sp_op_CI_CI
    .private_segment_fixed_size: 0
    .sgpr_count:     24
    .sgpr_spill_count: 0
    .symbol:         bluestein_single_back_len1372_dim1_sp_op_CI_CI.kd
    .uniform_work_group_size: 1
    .uses_dynamic_stack: false
    .vgpr_count:     183
    .vgpr_spill_count: 0
    .wavefront_size: 64
amdhsa.target:   amdgcn-amd-amdhsa--gfx906
amdhsa.version:
  - 1
  - 2
...

	.end_amdgpu_metadata
